;; amdgpu-corpus repo=ROCm/rocFFT kind=compiled arch=gfx1201 opt=O3
	.text
	.amdgcn_target "amdgcn-amd-amdhsa--gfx1201"
	.amdhsa_code_object_version 6
	.protected	fft_rtc_fwd_len1170_factors_2_13_3_5_3_wgs_117_tpt_117_sp_ip_CI_unitstride_sbrr_C2R_dirReg ; -- Begin function fft_rtc_fwd_len1170_factors_2_13_3_5_3_wgs_117_tpt_117_sp_ip_CI_unitstride_sbrr_C2R_dirReg
	.globl	fft_rtc_fwd_len1170_factors_2_13_3_5_3_wgs_117_tpt_117_sp_ip_CI_unitstride_sbrr_C2R_dirReg
	.p2align	8
	.type	fft_rtc_fwd_len1170_factors_2_13_3_5_3_wgs_117_tpt_117_sp_ip_CI_unitstride_sbrr_C2R_dirReg,@function
fft_rtc_fwd_len1170_factors_2_13_3_5_3_wgs_117_tpt_117_sp_ip_CI_unitstride_sbrr_C2R_dirReg: ; @fft_rtc_fwd_len1170_factors_2_13_3_5_3_wgs_117_tpt_117_sp_ip_CI_unitstride_sbrr_C2R_dirReg
; %bb.0:
	s_clause 0x2
	s_load_b128 s[4:7], s[0:1], 0x0
	s_load_b64 s[8:9], s[0:1], 0x50
	s_load_b64 s[10:11], s[0:1], 0x18
	v_mul_u32_u24_e32 v1, 0x231, v0
	v_mov_b32_e32 v3, 0
	s_delay_alu instid0(VALU_DEP_2) | instskip(NEXT) | instid1(VALU_DEP_1)
	v_lshrrev_b32_e32 v1, 16, v1
	v_add_nc_u32_e32 v5, ttmp9, v1
	v_mov_b32_e32 v1, 0
	v_mov_b32_e32 v2, 0
	;; [unrolled: 1-line block ×3, first 2 shown]
	s_wait_kmcnt 0x0
	v_cmp_lt_u64_e64 s2, s[6:7], 2
	s_delay_alu instid0(VALU_DEP_1)
	s_and_b32 vcc_lo, exec_lo, s2
	s_cbranch_vccnz .LBB0_8
; %bb.1:
	s_load_b64 s[2:3], s[0:1], 0x10
	v_mov_b32_e32 v1, 0
	v_mov_b32_e32 v2, 0
	s_add_nc_u64 s[12:13], s[10:11], 8
	s_mov_b64 s[14:15], 1
	s_wait_kmcnt 0x0
	s_add_nc_u64 s[16:17], s[2:3], 8
	s_mov_b32 s3, 0
.LBB0_2:                                ; =>This Inner Loop Header: Depth=1
	s_load_b64 s[18:19], s[16:17], 0x0
                                        ; implicit-def: $vgpr7_vgpr8
	s_mov_b32 s2, exec_lo
	s_wait_kmcnt 0x0
	v_or_b32_e32 v4, s19, v6
	s_delay_alu instid0(VALU_DEP_1)
	v_cmpx_ne_u64_e32 0, v[3:4]
	s_wait_alu 0xfffe
	s_xor_b32 s20, exec_lo, s2
	s_cbranch_execz .LBB0_4
; %bb.3:                                ;   in Loop: Header=BB0_2 Depth=1
	s_cvt_f32_u32 s2, s18
	s_cvt_f32_u32 s21, s19
	s_sub_nc_u64 s[24:25], 0, s[18:19]
	s_wait_alu 0xfffe
	s_delay_alu instid0(SALU_CYCLE_1) | instskip(SKIP_1) | instid1(SALU_CYCLE_2)
	s_fmamk_f32 s2, s21, 0x4f800000, s2
	s_wait_alu 0xfffe
	v_s_rcp_f32 s2, s2
	s_delay_alu instid0(TRANS32_DEP_1) | instskip(SKIP_1) | instid1(SALU_CYCLE_2)
	s_mul_f32 s2, s2, 0x5f7ffffc
	s_wait_alu 0xfffe
	s_mul_f32 s21, s2, 0x2f800000
	s_wait_alu 0xfffe
	s_delay_alu instid0(SALU_CYCLE_2) | instskip(SKIP_1) | instid1(SALU_CYCLE_2)
	s_trunc_f32 s21, s21
	s_wait_alu 0xfffe
	s_fmamk_f32 s2, s21, 0xcf800000, s2
	s_cvt_u32_f32 s23, s21
	s_wait_alu 0xfffe
	s_delay_alu instid0(SALU_CYCLE_1) | instskip(SKIP_1) | instid1(SALU_CYCLE_2)
	s_cvt_u32_f32 s22, s2
	s_wait_alu 0xfffe
	s_mul_u64 s[26:27], s[24:25], s[22:23]
	s_wait_alu 0xfffe
	s_mul_hi_u32 s29, s22, s27
	s_mul_i32 s28, s22, s27
	s_mul_hi_u32 s2, s22, s26
	s_mul_i32 s30, s23, s26
	s_wait_alu 0xfffe
	s_add_nc_u64 s[28:29], s[2:3], s[28:29]
	s_mul_hi_u32 s21, s23, s26
	s_mul_hi_u32 s31, s23, s27
	s_add_co_u32 s2, s28, s30
	s_wait_alu 0xfffe
	s_add_co_ci_u32 s2, s29, s21
	s_mul_i32 s26, s23, s27
	s_add_co_ci_u32 s27, s31, 0
	s_wait_alu 0xfffe
	s_add_nc_u64 s[26:27], s[2:3], s[26:27]
	s_wait_alu 0xfffe
	v_add_co_u32 v4, s2, s22, s26
	s_delay_alu instid0(VALU_DEP_1) | instskip(SKIP_1) | instid1(VALU_DEP_1)
	s_cmp_lg_u32 s2, 0
	s_add_co_ci_u32 s23, s23, s27
	v_readfirstlane_b32 s22, v4
	s_wait_alu 0xfffe
	s_delay_alu instid0(VALU_DEP_1)
	s_mul_u64 s[24:25], s[24:25], s[22:23]
	s_wait_alu 0xfffe
	s_mul_hi_u32 s27, s22, s25
	s_mul_i32 s26, s22, s25
	s_mul_hi_u32 s2, s22, s24
	s_mul_i32 s28, s23, s24
	s_wait_alu 0xfffe
	s_add_nc_u64 s[26:27], s[2:3], s[26:27]
	s_mul_hi_u32 s21, s23, s24
	s_mul_hi_u32 s22, s23, s25
	s_wait_alu 0xfffe
	s_add_co_u32 s2, s26, s28
	s_add_co_ci_u32 s2, s27, s21
	s_mul_i32 s24, s23, s25
	s_add_co_ci_u32 s25, s22, 0
	s_wait_alu 0xfffe
	s_add_nc_u64 s[24:25], s[2:3], s[24:25]
	s_wait_alu 0xfffe
	v_add_co_u32 v4, s2, v4, s24
	s_delay_alu instid0(VALU_DEP_1) | instskip(SKIP_1) | instid1(VALU_DEP_1)
	s_cmp_lg_u32 s2, 0
	s_add_co_ci_u32 s2, s23, s25
	v_mul_hi_u32 v13, v5, v4
	s_wait_alu 0xfffe
	v_mad_co_u64_u32 v[7:8], null, v5, s2, 0
	v_mad_co_u64_u32 v[9:10], null, v6, v4, 0
	;; [unrolled: 1-line block ×3, first 2 shown]
	s_delay_alu instid0(VALU_DEP_3) | instskip(SKIP_1) | instid1(VALU_DEP_4)
	v_add_co_u32 v4, vcc_lo, v13, v7
	s_wait_alu 0xfffd
	v_add_co_ci_u32_e32 v7, vcc_lo, 0, v8, vcc_lo
	s_delay_alu instid0(VALU_DEP_2) | instskip(SKIP_1) | instid1(VALU_DEP_2)
	v_add_co_u32 v4, vcc_lo, v4, v9
	s_wait_alu 0xfffd
	v_add_co_ci_u32_e32 v4, vcc_lo, v7, v10, vcc_lo
	s_wait_alu 0xfffd
	v_add_co_ci_u32_e32 v7, vcc_lo, 0, v12, vcc_lo
	s_delay_alu instid0(VALU_DEP_2) | instskip(SKIP_1) | instid1(VALU_DEP_2)
	v_add_co_u32 v4, vcc_lo, v4, v11
	s_wait_alu 0xfffd
	v_add_co_ci_u32_e32 v9, vcc_lo, 0, v7, vcc_lo
	s_delay_alu instid0(VALU_DEP_2) | instskip(SKIP_1) | instid1(VALU_DEP_3)
	v_mul_lo_u32 v10, s19, v4
	v_mad_co_u64_u32 v[7:8], null, s18, v4, 0
	v_mul_lo_u32 v11, s18, v9
	s_delay_alu instid0(VALU_DEP_2) | instskip(NEXT) | instid1(VALU_DEP_2)
	v_sub_co_u32 v7, vcc_lo, v5, v7
	v_add3_u32 v8, v8, v11, v10
	s_delay_alu instid0(VALU_DEP_1) | instskip(SKIP_1) | instid1(VALU_DEP_1)
	v_sub_nc_u32_e32 v10, v6, v8
	s_wait_alu 0xfffd
	v_subrev_co_ci_u32_e64 v10, s2, s19, v10, vcc_lo
	v_add_co_u32 v11, s2, v4, 2
	s_wait_alu 0xf1ff
	v_add_co_ci_u32_e64 v12, s2, 0, v9, s2
	v_sub_co_u32 v13, s2, v7, s18
	v_sub_co_ci_u32_e32 v8, vcc_lo, v6, v8, vcc_lo
	s_wait_alu 0xf1ff
	v_subrev_co_ci_u32_e64 v10, s2, 0, v10, s2
	s_delay_alu instid0(VALU_DEP_3) | instskip(NEXT) | instid1(VALU_DEP_3)
	v_cmp_le_u32_e32 vcc_lo, s18, v13
	v_cmp_eq_u32_e64 s2, s19, v8
	s_wait_alu 0xfffd
	v_cndmask_b32_e64 v13, 0, -1, vcc_lo
	v_cmp_le_u32_e32 vcc_lo, s19, v10
	s_wait_alu 0xfffd
	v_cndmask_b32_e64 v14, 0, -1, vcc_lo
	v_cmp_le_u32_e32 vcc_lo, s18, v7
	;; [unrolled: 3-line block ×3, first 2 shown]
	s_wait_alu 0xfffd
	v_cndmask_b32_e64 v15, 0, -1, vcc_lo
	v_cmp_eq_u32_e32 vcc_lo, s19, v10
	s_wait_alu 0xf1ff
	s_delay_alu instid0(VALU_DEP_2)
	v_cndmask_b32_e64 v7, v15, v7, s2
	s_wait_alu 0xfffd
	v_cndmask_b32_e32 v10, v14, v13, vcc_lo
	v_add_co_u32 v13, vcc_lo, v4, 1
	s_wait_alu 0xfffd
	v_add_co_ci_u32_e32 v14, vcc_lo, 0, v9, vcc_lo
	s_delay_alu instid0(VALU_DEP_3) | instskip(SKIP_2) | instid1(VALU_DEP_3)
	v_cmp_ne_u32_e32 vcc_lo, 0, v10
	s_wait_alu 0xfffd
	v_cndmask_b32_e32 v10, v13, v11, vcc_lo
	v_cndmask_b32_e32 v8, v14, v12, vcc_lo
	v_cmp_ne_u32_e32 vcc_lo, 0, v7
	s_wait_alu 0xfffd
	s_delay_alu instid0(VALU_DEP_2)
	v_dual_cndmask_b32 v7, v4, v10 :: v_dual_cndmask_b32 v8, v9, v8
.LBB0_4:                                ;   in Loop: Header=BB0_2 Depth=1
	s_wait_alu 0xfffe
	s_and_not1_saveexec_b32 s2, s20
	s_cbranch_execz .LBB0_6
; %bb.5:                                ;   in Loop: Header=BB0_2 Depth=1
	v_cvt_f32_u32_e32 v4, s18
	s_sub_co_i32 s20, 0, s18
	s_delay_alu instid0(VALU_DEP_1) | instskip(NEXT) | instid1(TRANS32_DEP_1)
	v_rcp_iflag_f32_e32 v4, v4
	v_mul_f32_e32 v4, 0x4f7ffffe, v4
	s_delay_alu instid0(VALU_DEP_1) | instskip(SKIP_1) | instid1(VALU_DEP_1)
	v_cvt_u32_f32_e32 v4, v4
	s_wait_alu 0xfffe
	v_mul_lo_u32 v7, s20, v4
	s_delay_alu instid0(VALU_DEP_1) | instskip(NEXT) | instid1(VALU_DEP_1)
	v_mul_hi_u32 v7, v4, v7
	v_add_nc_u32_e32 v4, v4, v7
	s_delay_alu instid0(VALU_DEP_1) | instskip(NEXT) | instid1(VALU_DEP_1)
	v_mul_hi_u32 v4, v5, v4
	v_mul_lo_u32 v7, v4, s18
	v_add_nc_u32_e32 v8, 1, v4
	s_delay_alu instid0(VALU_DEP_2) | instskip(NEXT) | instid1(VALU_DEP_1)
	v_sub_nc_u32_e32 v7, v5, v7
	v_subrev_nc_u32_e32 v9, s18, v7
	v_cmp_le_u32_e32 vcc_lo, s18, v7
	s_wait_alu 0xfffd
	s_delay_alu instid0(VALU_DEP_2) | instskip(NEXT) | instid1(VALU_DEP_1)
	v_dual_cndmask_b32 v7, v7, v9 :: v_dual_cndmask_b32 v4, v4, v8
	v_cmp_le_u32_e32 vcc_lo, s18, v7
	s_delay_alu instid0(VALU_DEP_2) | instskip(SKIP_1) | instid1(VALU_DEP_1)
	v_add_nc_u32_e32 v8, 1, v4
	s_wait_alu 0xfffd
	v_dual_cndmask_b32 v7, v4, v8 :: v_dual_mov_b32 v8, v3
.LBB0_6:                                ;   in Loop: Header=BB0_2 Depth=1
	s_wait_alu 0xfffe
	s_or_b32 exec_lo, exec_lo, s2
	s_load_b64 s[20:21], s[12:13], 0x0
	s_delay_alu instid0(VALU_DEP_1)
	v_mul_lo_u32 v4, v8, s18
	v_mul_lo_u32 v11, v7, s19
	v_mad_co_u64_u32 v[9:10], null, v7, s18, 0
	s_add_nc_u64 s[14:15], s[14:15], 1
	s_add_nc_u64 s[12:13], s[12:13], 8
	s_wait_alu 0xfffe
	v_cmp_ge_u64_e64 s2, s[14:15], s[6:7]
	s_add_nc_u64 s[16:17], s[16:17], 8
	s_delay_alu instid0(VALU_DEP_2) | instskip(NEXT) | instid1(VALU_DEP_3)
	v_add3_u32 v4, v10, v11, v4
	v_sub_co_u32 v5, vcc_lo, v5, v9
	s_wait_alu 0xfffd
	s_delay_alu instid0(VALU_DEP_2) | instskip(SKIP_3) | instid1(VALU_DEP_2)
	v_sub_co_ci_u32_e32 v4, vcc_lo, v6, v4, vcc_lo
	s_and_b32 vcc_lo, exec_lo, s2
	s_wait_kmcnt 0x0
	v_mul_lo_u32 v6, s21, v5
	v_mul_lo_u32 v4, s20, v4
	v_mad_co_u64_u32 v[1:2], null, s20, v5, v[1:2]
	s_delay_alu instid0(VALU_DEP_1)
	v_add3_u32 v2, v6, v2, v4
	s_wait_alu 0xfffe
	s_cbranch_vccnz .LBB0_9
; %bb.7:                                ;   in Loop: Header=BB0_2 Depth=1
	v_dual_mov_b32 v5, v7 :: v_dual_mov_b32 v6, v8
	s_branch .LBB0_2
.LBB0_8:
	v_dual_mov_b32 v8, v6 :: v_dual_mov_b32 v7, v5
.LBB0_9:
	s_lshl_b64 s[2:3], s[6:7], 3
	v_mul_hi_u32 v5, 0x2302303, v0
	s_wait_alu 0xfffe
	s_add_nc_u64 s[2:3], s[10:11], s[2:3]
	s_load_b64 s[2:3], s[2:3], 0x0
	s_load_b64 s[0:1], s[0:1], 0x20
	s_wait_kmcnt 0x0
	v_mul_lo_u32 v3, s2, v8
	v_mul_lo_u32 v4, s3, v7
	v_mad_co_u64_u32 v[1:2], null, s2, v7, v[1:2]
	v_cmp_gt_u64_e32 vcc_lo, s[0:1], v[7:8]
	s_delay_alu instid0(VALU_DEP_2) | instskip(SKIP_1) | instid1(VALU_DEP_2)
	v_add3_u32 v2, v4, v2, v3
	v_mul_u32_u24_e32 v3, 0x75, v5
	v_lshlrev_b64_e32 v[26:27], 3, v[1:2]
	s_delay_alu instid0(VALU_DEP_2)
	v_sub_nc_u32_e32 v24, v0, v3
	s_and_saveexec_b32 s1, vcc_lo
	s_cbranch_execz .LBB0_13
; %bb.10:
	s_delay_alu instid0(VALU_DEP_1)
	v_lshl_add_u32 v22, v24, 3, 0
	v_mov_b32_e32 v25, 0
	v_add_co_u32 v0, s0, s8, v26
	s_wait_alu 0xf1ff
	v_add_co_ci_u32_e64 v1, s0, s9, v27, s0
	v_add_nc_u32_e32 v28, 0xc00, v22
	v_lshlrev_b64_e32 v[2:3], 3, v[24:25]
	v_add_nc_u32_e32 v23, 0x400, v22
	v_add_nc_u32_e32 v29, 0x1400, v22
	s_mov_b32 s2, exec_lo
	v_add_nc_u32_e32 v30, 0x1c00, v22
	s_delay_alu instid0(VALU_DEP_4)
	v_add_co_u32 v2, s0, v0, v2
	s_wait_alu 0xf1ff
	v_add_co_ci_u32_e64 v3, s0, v1, v3, s0
	s_clause 0x9
	global_load_b64 v[4:5], v[2:3], off
	global_load_b64 v[6:7], v[2:3], off offset:936
	global_load_b64 v[8:9], v[2:3], off offset:1872
	;; [unrolled: 1-line block ×9, first 2 shown]
	s_wait_loadcnt 0x8
	ds_store_2addr_b64 v22, v[4:5], v[6:7] offset1:117
	s_wait_loadcnt 0x6
	ds_store_2addr_b64 v23, v[8:9], v[10:11] offset0:106 offset1:223
	s_wait_loadcnt 0x4
	ds_store_2addr_b64 v28, v[12:13], v[14:15] offset0:84 offset1:201
	;; [unrolled: 2-line block ×4, first 2 shown]
	v_cmpx_eq_u32_e32 0x74, v24
	s_cbranch_execz .LBB0_12
; %bb.11:
	global_load_b64 v[0:1], v[0:1], off offset:9360
	v_mov_b32_e32 v24, 0x74
	s_wait_loadcnt 0x0
	ds_store_b64 v25, v[0:1] offset:9360
.LBB0_12:
	s_wait_alu 0xfffe
	s_or_b32 exec_lo, exec_lo, s2
.LBB0_13:
	s_wait_alu 0xfffe
	s_or_b32 exec_lo, exec_lo, s1
	v_lshlrev_b32_e32 v0, 3, v24
	global_wb scope:SCOPE_SE
	s_wait_dscnt 0x0
	s_barrier_signal -1
	s_barrier_wait -1
	global_inv scope:SCOPE_SE
	v_add_nc_u32_e32 v34, 0, v0
	v_sub_nc_u32_e32 v4, 0, v0
	s_mov_b32 s1, exec_lo
                                        ; implicit-def: $vgpr2_vgpr3
	ds_load_b32 v5, v34
	ds_load_b32 v6, v4 offset:9360
	s_wait_dscnt 0x0
	v_dual_sub_f32 v1, v5, v6 :: v_dual_add_f32 v0, v6, v5
	v_cmpx_ne_u32_e32 0, v24
	s_wait_alu 0xfffe
	s_xor_b32 s1, exec_lo, s1
	s_cbranch_execz .LBB0_15
; %bb.14:
	v_dual_mov_b32 v25, 0 :: v_dual_sub_f32 v8, v5, v6
	s_delay_alu instid0(VALU_DEP_1) | instskip(NEXT) | instid1(VALU_DEP_1)
	v_lshlrev_b64_e32 v[0:1], 3, v[24:25]
	v_add_co_u32 v0, s0, s4, v0
	s_wait_alu 0xf1ff
	s_delay_alu instid0(VALU_DEP_2)
	v_add_co_ci_u32_e64 v1, s0, s5, v1, s0
	global_load_b64 v[2:3], v[0:1], off offset:9344
	ds_load_b32 v0, v4 offset:9364
	ds_load_b32 v1, v34 offset:4
	v_add_f32_e32 v7, v6, v5
	s_wait_dscnt 0x0
	v_dual_add_f32 v9, v0, v1 :: v_dual_sub_f32 v0, v1, v0
	s_wait_loadcnt 0x0
	s_delay_alu instid0(VALU_DEP_2) | instskip(NEXT) | instid1(VALU_DEP_2)
	v_fma_f32 v5, -v8, v3, v7
	v_fma_f32 v6, v9, v3, -v0
	v_fma_f32 v10, v8, v3, v7
	v_fma_f32 v1, v9, v3, v0
	s_delay_alu instid0(VALU_DEP_3) | instskip(NEXT) | instid1(VALU_DEP_3)
	v_dual_fmac_f32 v5, v2, v9 :: v_dual_fmac_f32 v6, v8, v2
	v_fma_f32 v0, -v2, v9, v10
	s_delay_alu instid0(VALU_DEP_3)
	v_fmac_f32_e32 v1, v8, v2
	v_dual_mov_b32 v2, v24 :: v_dual_mov_b32 v3, v25
	ds_store_b64 v4, v[5:6] offset:9360
.LBB0_15:
	s_wait_alu 0xfffe
	s_and_not1_saveexec_b32 s0, s1
	s_cbranch_execz .LBB0_17
; %bb.16:
	v_mov_b32_e32 v7, 0
	ds_load_b64 v[2:3], v7 offset:4680
	s_wait_dscnt 0x0
	v_dual_mul_f32 v6, -2.0, v3 :: v_dual_add_f32 v5, v2, v2
	v_mov_b32_e32 v2, 0
	v_mov_b32_e32 v3, 0
	ds_store_b64 v7, v[5:6] offset:4680
.LBB0_17:
	s_wait_alu 0xfffe
	s_or_b32 exec_lo, exec_lo, s0
	v_lshlrev_b64_e32 v[2:3], 3, v[2:3]
	s_add_nc_u64 s[0:1], s[4:5], 0x2480
	v_lshl_add_u32 v22, v24, 3, v34
	v_add_nc_u32_e32 v20, 0x1400, v34
	s_wait_alu 0xfffe
	s_delay_alu instid0(VALU_DEP_3)
	v_add_co_u32 v2, s0, s0, v2
	s_wait_alu 0xf1ff
	v_add_co_ci_u32_e64 v3, s0, s1, v3, s0
	s_clause 0x3
	global_load_b64 v[5:6], v[2:3], off offset:936
	global_load_b64 v[7:8], v[2:3], off offset:1872
	;; [unrolled: 1-line block ×4, first 2 shown]
	ds_store_b64 v34, v[0:1]
	ds_load_b64 v[0:1], v34 offset:936
	ds_load_b64 v[11:12], v4 offset:8424
	v_cmp_gt_u32_e64 s0, 0x5a, v24
	s_wait_dscnt 0x0
	v_add_f32_e32 v13, v0, v11
	v_add_f32_e32 v14, v12, v1
	v_dual_sub_f32 v15, v0, v11 :: v_dual_sub_f32 v0, v1, v12
	s_wait_loadcnt 0x3
	s_delay_alu instid0(VALU_DEP_1) | instskip(NEXT) | instid1(VALU_DEP_2)
	v_fma_f32 v16, v15, v6, v13
	v_fma_f32 v1, v14, v6, v0
	v_fma_f32 v11, -v15, v6, v13
	v_fma_f32 v12, v14, v6, -v0
	s_delay_alu instid0(VALU_DEP_4) | instskip(NEXT) | instid1(VALU_DEP_4)
	v_fma_f32 v0, -v5, v14, v16
	v_fmac_f32_e32 v1, v15, v5
	s_delay_alu instid0(VALU_DEP_3)
	v_dual_fmac_f32 v11, v5, v14 :: v_dual_fmac_f32 v12, v15, v5
	ds_store_b64 v34, v[0:1] offset:936
	ds_store_b64 v4, v[11:12] offset:8424
	ds_load_b64 v[0:1], v34 offset:1872
	ds_load_b64 v[5:6], v4 offset:7488
	s_wait_dscnt 0x0
	v_add_f32_e32 v11, v0, v5
	v_add_f32_e32 v12, v6, v1
	v_dual_sub_f32 v13, v0, v5 :: v_dual_sub_f32 v0, v1, v6
	s_wait_loadcnt 0x2
	s_delay_alu instid0(VALU_DEP_1) | instskip(NEXT) | instid1(VALU_DEP_2)
	v_fma_f32 v14, v13, v8, v11
	v_fma_f32 v1, v12, v8, v0
	v_fma_f32 v5, -v13, v8, v11
	v_fma_f32 v6, v12, v8, -v0
	s_delay_alu instid0(VALU_DEP_4) | instskip(NEXT) | instid1(VALU_DEP_4)
	v_fma_f32 v0, -v7, v12, v14
	v_fmac_f32_e32 v1, v13, v7
	s_delay_alu instid0(VALU_DEP_3)
	v_dual_fmac_f32 v5, v7, v12 :: v_dual_fmac_f32 v6, v13, v7
	ds_store_b64 v34, v[0:1] offset:1872
	ds_store_b64 v4, v[5:6] offset:7488
	ds_load_b64 v[0:1], v34 offset:2808
	ds_load_b64 v[5:6], v4 offset:6552
	;; [unrolled: 19-line block ×3, first 2 shown]
	s_wait_dscnt 0x0
	v_add_f32_e32 v7, v0, v5
	v_sub_f32_e32 v9, v0, v5
	v_add_f32_e32 v8, v6, v1
	v_sub_f32_e32 v0, v1, v6
	s_wait_loadcnt 0x0
	s_delay_alu instid0(VALU_DEP_3) | instskip(SKIP_1) | instid1(VALU_DEP_3)
	v_fma_f32 v10, v9, v3, v7
	v_fma_f32 v5, -v9, v3, v7
	v_fma_f32 v1, v8, v3, v0
	s_delay_alu instid0(VALU_DEP_1) | instskip(SKIP_2) | instid1(VALU_DEP_2)
	v_fmac_f32_e32 v1, v9, v2
	v_fma_f32 v6, v8, v3, -v0
	v_fma_f32 v0, -v2, v8, v10
	v_dual_fmac_f32 v5, v2, v8 :: v_dual_fmac_f32 v6, v9, v2
	v_add_nc_u32_e32 v2, 0xc00, v34
	ds_store_b64 v34, v[0:1] offset:3744
	ds_store_b64 v4, v[5:6] offset:5616
	v_add_nc_u32_e32 v0, 0x1c00, v34
	global_wb scope:SCOPE_SE
	s_wait_dscnt 0x0
	s_barrier_signal -1
	s_barrier_wait -1
	global_inv scope:SCOPE_SE
	global_wb scope:SCOPE_SE
	s_barrier_signal -1
	s_barrier_wait -1
	global_inv scope:SCOPE_SE
	ds_load_2addr_b64 v[35:38], v34 offset1:117
	ds_load_2addr_b64 v[4:7], v2 offset0:84 offset1:201
	v_add_nc_u32_e32 v21, 0x400, v34
	ds_load_2addr_b64 v[8:11], v20 offset0:62 offset1:179
	ds_load_2addr_b64 v[39:42], v21 offset0:106 offset1:223
	;; [unrolled: 1-line block ×3, first 2 shown]
	v_add_nc_u32_e32 v30, 0x75, v24
	v_add_nc_u32_e32 v31, 0xea, v24
	;; [unrolled: 1-line block ×3, first 2 shown]
	v_lshlrev_b32_e32 v0, 4, v24
	global_wb scope:SCOPE_SE
	s_wait_dscnt 0x0
	s_barrier_signal -1
	s_barrier_wait -1
	global_inv scope:SCOPE_SE
	v_dual_sub_f32 v2, v35, v6 :: v_dual_sub_f32 v3, v36, v7
	v_lshl_add_u32 v23, v30, 4, 0
	v_dual_sub_f32 v19, v38, v9 :: v_dual_sub_f32 v18, v37, v8
	v_dual_sub_f32 v14, v39, v10 :: v_dual_sub_f32 v15, v40, v11
	;; [unrolled: 1-line block ×4, first 2 shown]
	v_lshl_add_u32 v28, v31, 4, 0
	v_add3_u32 v32, v0, 0, 0x1d40
	v_fma_f32 v0, v35, 2.0, -v2
	v_fma_f32 v1, v36, 2.0, -v3
	;; [unrolled: 1-line block ×10, first 2 shown]
	v_lshl_add_u32 v29, v25, 4, 0
	ds_store_2addr_b64 v22, v[0:1], v[2:3] offset1:1
	ds_store_2addr_b64 v23, v[16:17], v[18:19] offset1:1
	;; [unrolled: 1-line block ×5, first 2 shown]
	global_wb scope:SCOPE_SE
	s_wait_dscnt 0x0
	s_barrier_signal -1
	s_barrier_wait -1
	global_inv scope:SCOPE_SE
                                        ; implicit-def: $vgpr29
                                        ; implicit-def: $vgpr23
	s_and_saveexec_b32 s1, s0
	s_cbranch_execz .LBB0_19
; %bb.18:
	v_add_nc_u32_e32 v4, 0x800, v34
	v_add_nc_u32_e32 v5, 0x1000, v34
	;; [unrolled: 1-line block ×3, first 2 shown]
	ds_load_2addr_b64 v[0:3], v34 offset1:90
	ds_load_2addr_b64 v[16:19], v21 offset0:52 offset1:142
	ds_load_2addr_b64 v[12:15], v4 offset0:104 offset1:194
	;; [unrolled: 1-line block ×5, first 2 shown]
	ds_load_b64 v[28:29], v34 offset:8640
.LBB0_19:
	s_wait_alu 0xfffe
	s_or_b32 exec_lo, exec_lo, s1
	v_and_b32_e32 v32, 1, v24
	s_delay_alu instid0(VALU_DEP_1) | instskip(NEXT) | instid1(VALU_DEP_1)
	v_mul_u32_u24_e32 v33, 12, v32
	v_lshlrev_b32_e32 v33, 3, v33
	s_clause 0x5
	global_load_b128 v[45:48], v33, s[4:5]
	global_load_b128 v[52:55], v33, s[4:5] offset:16
	global_load_b128 v[56:59], v33, s[4:5] offset:32
	;; [unrolled: 1-line block ×5, first 2 shown]
	global_wb scope:SCOPE_SE
	s_wait_loadcnt_dscnt 0x0
	s_barrier_signal -1
	s_barrier_wait -1
	global_inv scope:SCOPE_SE
	v_mul_f32_e32 v49, v3, v46
	v_mul_f32_e32 v46, v2, v46
	v_dual_mul_f32 v50, v17, v48 :: v_dual_mul_f32 v43, v18, v53
	v_mul_f32_e32 v44, v16, v48
	v_mul_f32_e32 v48, v19, v53
	v_dual_mul_f32 v40, v8, v59 :: v_dual_mul_f32 v39, v10, v61
	v_mul_f32_e32 v33, v28, v71
	v_dual_mul_f32 v72, v13, v55 :: v_dual_mul_f32 v41, v14, v57
	v_dual_mul_f32 v42, v12, v55 :: v_dual_mul_f32 v55, v15, v57
	v_mul_f32_e32 v57, v9, v59
	v_mul_f32_e32 v59, v11, v61
	v_dual_mul_f32 v61, v5, v63 :: v_dual_fmac_f32 v46, v3, v45
	v_dual_mul_f32 v38, v4, v63 :: v_dual_mul_f32 v63, v7, v65
	v_dual_mul_f32 v37, v6, v65 :: v_dual_mul_f32 v36, v20, v67
	v_fma_f32 v51, v16, v47, -v50
	v_fma_f32 v50, v18, v52, -v48
	v_fmac_f32_e32 v40, v9, v58
	v_fmac_f32_e32 v33, v29, v70
	v_mul_f32_e32 v65, v21, v67
	v_dual_mul_f32 v67, v23, v69 :: v_dual_fmac_f32 v44, v17, v47
	v_dual_mul_f32 v35, v22, v69 :: v_dual_fmac_f32 v42, v13, v54
	v_fma_f32 v53, v2, v45, -v49
	s_delay_alu instid0(VALU_DEP_3)
	v_fma_f32 v9, v22, v68, -v67
	v_mul_f32_e32 v69, v29, v71
	v_dual_fmac_f32 v43, v19, v52 :: v_dual_fmac_f32 v38, v5, v62
	v_fma_f32 v49, v12, v54, -v72
	v_fma_f32 v48, v14, v56, -v55
	;; [unrolled: 1-line block ×3, first 2 shown]
	v_sub_f32_e32 v54, v46, v33
	v_add_f32_e32 v6, v51, v9
	v_fma_f32 v5, v28, v70, -v69
	v_fmac_f32_e32 v39, v11, v60
	v_fma_f32 v11, v20, v66, -v65
	v_dual_fmac_f32 v41, v15, v56 :: v_dual_fmac_f32 v36, v21, v66
	v_fma_f32 v15, v4, v62, -v61
	s_delay_alu instid0(VALU_DEP_3) | instskip(NEXT) | instid1(VALU_DEP_3)
	v_dual_fmac_f32 v35, v23, v68 :: v_dual_sub_f32 v62, v50, v11
	v_dual_sub_f32 v61, v51, v9 :: v_dual_add_f32 v28, v41, v38
	v_fma_f32 v45, v10, v60, -v59
	v_dual_fmac_f32 v37, v7, v64 :: v_dual_add_f32 v4, v53, v5
	v_dual_sub_f32 v59, v53, v5 :: v_dual_sub_f32 v56, v43, v36
	v_add_f32_e32 v10, v50, v11
	v_dual_add_f32 v7, v46, v33 :: v_dual_add_f32 v12, v43, v36
	v_dual_add_f32 v13, v49, v14 :: v_dual_sub_f32 v64, v48, v15
	v_mul_f32_e32 v73, 0xbf52af12, v54
	v_dual_mul_f32 v88, 0xbe750f2a, v61 :: v_dual_mul_f32 v75, 0xbe750f2a, v62
	v_fma_f32 v47, v8, v58, -v57
	s_delay_alu instid0(VALU_DEP_4)
	v_mul_f32_e32 v82, 0xbf52af12, v64
	v_dual_add_f32 v8, v44, v35 :: v_dual_sub_f32 v65, v49, v14
	v_add_f32_e32 v52, v40, v39
	v_fma_f32 v103, 0xbf788fa5, v12, -v75
	v_fmamk_f32 v2, v4, 0x3f116cb1, v73
	v_mul_f32_e32 v79, 0xbf52af12, v59
	v_dual_mul_f32 v89, 0xbf7e222b, v59 :: v_dual_mul_f32 v100, 0xbf7e222b, v65
	v_dual_mul_f32 v93, 0xbf6f5d39, v59 :: v_dual_mul_f32 v78, 0xbf6f5d39, v61
	s_delay_alu instid0(VALU_DEP_4) | instskip(NEXT) | instid1(VALU_DEP_4)
	v_add_f32_e32 v2, v0, v2
	v_fma_f32 v3, 0x3f116cb1, v7, -v79
	v_dual_sub_f32 v57, v42, v37 :: v_dual_sub_f32 v58, v41, v38
	v_dual_add_f32 v29, v47, v45 :: v_dual_sub_f32 v60, v40, v39
	s_delay_alu instid0(VALU_DEP_3)
	v_dual_mul_f32 v72, 0xbe750f2a, v56 :: v_dual_add_f32 v3, v1, v3
	v_fma_f32 v17, 0x3df6dbef, v7, -v89
	v_fma_f32 v19, 0xbeb58ec6, v8, -v78
	v_dual_sub_f32 v55, v44, v35 :: v_dual_add_f32 v22, v42, v37
	v_sub_f32_e32 v63, v47, v45
	v_dual_mul_f32 v85, 0xbf7e222b, v54 :: v_dual_mul_f32 v98, 0xbf7e222b, v57
	s_delay_alu instid0(VALU_DEP_4)
	v_dual_mul_f32 v80, 0x3eedf032, v57 :: v_dual_add_f32 v3, v19, v3
	v_dual_mul_f32 v66, 0x3eedf032, v60 :: v_dual_add_f32 v17, v1, v17
	v_fma_f32 v21, 0xbf788fa5, v8, -v88
	v_fma_f32 v119, 0xbeb58ec6, v7, -v93
	v_mul_f32_e32 v74, 0x3f29c268, v65
	v_mul_f32_e32 v84, 0xbe750f2a, v55
	s_delay_alu instid0(VALU_DEP_4) | instskip(NEXT) | instid1(VALU_DEP_4)
	v_dual_mul_f32 v68, 0x3eedf032, v63 :: v_dual_add_f32 v17, v21, v17
	v_dual_fmamk_f32 v16, v4, 0x3df6dbef, v85 :: v_dual_add_f32 v119, v1, v119
	s_delay_alu instid0(VALU_DEP_4) | instskip(SKIP_1) | instid1(VALU_DEP_3)
	v_fma_f32 v107, 0xbf3f9e67, v22, -v74
	v_add_f32_e32 v3, v103, v3
	v_dual_mul_f32 v71, 0xbf6f5d39, v55 :: v_dual_add_f32 v16, v0, v16
	v_dual_mul_f32 v91, 0x3f29c268, v55 :: v_dual_mul_f32 v94, 0x3f29c268, v61
	s_delay_alu instid0(VALU_DEP_3) | instskip(SKIP_2) | instid1(VALU_DEP_4)
	v_dual_fmamk_f32 v20, v6, 0xbf788fa5, v84 :: v_dual_add_f32 v3, v107, v3
	v_mul_f32_e32 v87, 0x3f6f5d39, v62
	v_dual_mul_f32 v90, 0x3eedf032, v56 :: v_dual_mul_f32 v101, 0x3eedf032, v62
	v_fma_f32 v121, 0xbf3f9e67, v8, -v94
	v_mul_f32_e32 v86, 0x3eedf032, v65
	v_add_f32_e32 v16, v20, v16
	v_fma_f32 v105, 0xbeb58ec6, v12, -v87
	v_fma_f32 v123, 0x3f62ad3f, v12, -v101
	v_dual_add_f32 v19, v121, v119 :: v_dual_fmamk_f32 v18, v6, 0xbeb58ec6, v71
	v_fma_f32 v109, 0x3f62ad3f, v22, -v86
	s_delay_alu instid0(VALU_DEP_4) | instskip(SKIP_1) | instid1(VALU_DEP_4)
	v_add_f32_e32 v17, v105, v17
	v_dual_add_f32 v23, v48, v15 :: v_dual_mul_f32 v92, 0xbf6f5d39, v54
	v_dual_fmamk_f32 v102, v10, 0xbf788fa5, v72 :: v_dual_add_f32 v19, v123, v19
	s_delay_alu instid0(VALU_DEP_3) | instskip(SKIP_4) | instid1(VALU_DEP_4)
	v_add_f32_e32 v17, v109, v17
	v_dual_mul_f32 v69, 0x3f29c268, v57 :: v_dual_add_f32 v2, v18, v2
	v_mul_f32_e32 v97, 0x3f52af12, v63
	v_fmamk_f32 v120, v6, 0xbf3f9e67, v91
	v_dual_mul_f32 v67, 0x3f7e222b, v58 :: v_dual_mul_f32 v70, 0x3f7e222b, v64
	v_add_f32_e32 v2, v102, v2
	s_delay_alu instid0(VALU_DEP_4) | instskip(SKIP_4) | instid1(VALU_DEP_4)
	v_fma_f32 v129, 0x3f116cb1, v52, -v97
	v_fmamk_f32 v118, v4, 0xbeb58ec6, v92
	v_mul_f32_e32 v83, 0x3f6f5d39, v56
	v_dual_mul_f32 v96, 0x3e750f2a, v58 :: v_dual_mul_f32 v99, 0x3e750f2a, v64
	v_fmamk_f32 v122, v10, 0x3f62ad3f, v90
	v_dual_add_f32 v118, v0, v118 :: v_dual_mul_f32 v95, 0x3f52af12, v60
	v_fma_f32 v125, 0x3df6dbef, v22, -v100
	v_fmamk_f32 v104, v10, 0xbeb58ec6, v83
	v_dual_mul_f32 v76, 0xbf29c268, v60 :: v_dual_mul_f32 v81, 0xbf29c268, v63
	s_delay_alu instid0(VALU_DEP_4)
	v_add_f32_e32 v18, v120, v118
	v_fma_f32 v111, 0x3df6dbef, v28, -v70
	v_fmamk_f32 v106, v13, 0xbf3f9e67, v69
	v_fma_f32 v113, 0x3f116cb1, v28, -v82
	v_fmamk_f32 v124, v13, 0x3df6dbef, v98
	v_fma_f32 v127, 0xbf788fa5, v28, -v99
	v_dual_add_f32 v3, v111, v3 :: v_dual_add_f32 v18, v122, v18
	v_add_f32_e32 v19, v125, v19
	v_dual_mul_f32 v77, 0xbf52af12, v58 :: v_dual_add_f32 v16, v104, v16
	v_fmamk_f32 v108, v13, 0x3f62ad3f, v80
	v_dual_fmamk_f32 v110, v23, 0x3df6dbef, v67 :: v_dual_add_f32 v17, v113, v17
	v_fma_f32 v117, 0xbf3f9e67, v52, -v81
	s_delay_alu instid0(VALU_DEP_4) | instskip(SKIP_2) | instid1(VALU_DEP_4)
	v_fmamk_f32 v112, v23, 0x3f116cb1, v77
	v_fmamk_f32 v126, v23, 0xbf788fa5, v96
	v_add_f32_e32 v2, v106, v2
	v_dual_add_f32 v18, v124, v18 :: v_dual_add_f32 v21, v117, v17
	v_dual_add_f32 v103, v127, v19 :: v_dual_add_f32 v16, v108, v16
	v_fma_f32 v115, 0x3f62ad3f, v52, -v68
	v_fmamk_f32 v114, v29, 0x3f62ad3f, v66
	v_fmamk_f32 v116, v29, 0xbf3f9e67, v76
	v_fmamk_f32 v128, v29, 0x3f116cb1, v95
	s_delay_alu instid0(VALU_DEP_4) | instskip(SKIP_2) | instid1(VALU_DEP_3)
	v_dual_add_f32 v2, v110, v2 :: v_dual_add_f32 v19, v115, v3
	v_add_f32_e32 v16, v112, v16
	v_dual_add_f32 v102, v126, v18 :: v_dual_add_f32 v17, v129, v103
	v_add_f32_e32 v18, v114, v2
	s_delay_alu instid0(VALU_DEP_3) | instskip(NEXT) | instid1(VALU_DEP_3)
	v_add_f32_e32 v20, v116, v16
	v_add_f32_e32 v16, v128, v102
	s_and_saveexec_b32 s1, s0
	s_cbranch_execz .LBB0_21
; %bb.20:
	v_mul_f32_e32 v103, 0xbf29c268, v54
	v_mul_f32_e32 v122, 0x3eedf032, v55
	;; [unrolled: 1-line block ×5, first 2 shown]
	v_fmamk_f32 v108, v4, 0xbf3f9e67, v103
	v_fma_f32 v124, 0x3f62ad3f, v6, -v122
	v_dual_fmamk_f32 v113, v10, 0x3f116cb1, v107 :: v_dual_add_f32 v46, v1, v46
	s_delay_alu instid0(VALU_DEP_4) | instskip(NEXT) | instid1(VALU_DEP_4)
	v_fmamk_f32 v114, v13, 0xbf788fa5, v110
	v_add_f32_e32 v108, v0, v108
	v_fma_f32 v103, 0xbf3f9e67, v4, -v103
	v_mul_f32_e32 v118, 0x3eedf032, v61
	v_add_f32_e32 v44, v46, v44
	v_add_f32_e32 v46, v0, v53
	s_delay_alu instid0(VALU_DEP_4) | instskip(NEXT) | instid1(VALU_DEP_4)
	v_add_f32_e32 v103, v0, v103
	v_fmamk_f32 v120, v8, 0x3f62ad3f, v118
	v_mul_f32_e32 v106, 0x3f7e222b, v55
	v_mul_f32_e32 v119, 0xbe750f2a, v54
	v_add_f32_e32 v43, v44, v43
	v_add_f32_e32 v44, v46, v51
	s_delay_alu instid0(VALU_DEP_4) | instskip(SKIP_1) | instid1(VALU_DEP_4)
	v_fmamk_f32 v111, v6, 0x3df6dbef, v106
	v_mul_f32_e32 v105, 0xbf788fa5, v22
	v_add_f32_e32 v42, v43, v42
	s_delay_alu instid0(VALU_DEP_3) | instskip(SKIP_1) | instid1(VALU_DEP_3)
	v_dual_add_f32 v43, v44, v50 :: v_dual_add_f32 v108, v111, v108
	v_fmamk_f32 v3, v59, 0x3f29c268, v2
	v_add_f32_e32 v41, v42, v41
	s_delay_alu instid0(VALU_DEP_3) | instskip(SKIP_4) | instid1(VALU_DEP_2)
	v_add_f32_e32 v42, v43, v49
	v_mul_f32_e32 v54, 0xbeedf032, v54
	v_add_f32_e32 v108, v113, v108
	v_dual_mul_f32 v102, 0x3df6dbef, v8 :: v_dual_add_f32 v3, v1, v3
	v_dual_add_f32 v40, v41, v40 :: v_dual_mul_f32 v49, 0xbf6f5d39, v57
	v_dual_add_f32 v108, v114, v108 :: v_dual_fmamk_f32 v109, v61, 0xbf7e222b, v102
	v_mul_f32_e32 v104, 0x3f116cb1, v12
	v_dual_fmac_f32 v102, 0x3f7e222b, v61 :: v_dual_add_f32 v41, v42, v48
	s_delay_alu instid0(VALU_DEP_3) | instskip(SKIP_1) | instid1(VALU_DEP_3)
	v_add_f32_e32 v3, v109, v3
	v_mul_f32_e32 v109, 0x3f62ad3f, v28
	v_add_f32_e32 v41, v41, v47
	s_delay_alu instid0(VALU_DEP_2) | instskip(SKIP_3) | instid1(VALU_DEP_3)
	v_fmamk_f32 v113, v64, 0xbeedf032, v109
	v_fmamk_f32 v112, v62, 0x3f52af12, v104
	v_fmac_f32_e32 v104, 0xbf52af12, v62
	v_mul_f32_e32 v125, 0xbf29c268, v56
	v_dual_add_f32 v3, v112, v3 :: v_dual_mul_f32 v112, 0x3eedf032, v58
	s_delay_alu instid0(VALU_DEP_1) | instskip(SKIP_1) | instid1(VALU_DEP_2)
	v_fmamk_f32 v114, v23, 0x3f62ad3f, v112
	v_fmamk_f32 v111, v65, 0xbe750f2a, v105
	v_dual_fmac_f32 v105, 0x3e750f2a, v65 :: v_dual_add_f32 v108, v114, v108
	v_fma_f32 v114, 0xbf788fa5, v4, -v119
	s_delay_alu instid0(VALU_DEP_1) | instskip(NEXT) | instid1(VALU_DEP_1)
	v_dual_add_f32 v3, v111, v3 :: v_dual_add_f32 v114, v0, v114
	v_add_f32_e32 v114, v124, v114
	v_fma_f32 v124, 0xbf3f9e67, v10, -v125
	s_delay_alu instid0(VALU_DEP_1) | instskip(SKIP_1) | instid1(VALU_DEP_2)
	v_dual_add_f32 v114, v124, v114 :: v_dual_mul_f32 v111, 0xbe750f2a, v59
	v_mul_f32_e32 v124, 0xbf6f5d39, v58
	v_fmamk_f32 v117, v7, 0xbf788fa5, v111
	s_delay_alu instid0(VALU_DEP_1) | instskip(SKIP_1) | instid1(VALU_DEP_1)
	v_add_f32_e32 v117, v1, v117
	v_dual_mul_f32 v121, 0xbf29c268, v62 :: v_dual_fmac_f32 v2, 0xbf29c268, v59
	v_dual_mul_f32 v59, 0xbeedf032, v59 :: v_dual_add_f32 v2, v1, v2
	v_mul_f32_e32 v123, 0x3f52af12, v65
	v_dual_add_f32 v3, v113, v3 :: v_dual_mul_f32 v116, 0xbf6f5d39, v60
	s_delay_alu instid0(VALU_DEP_3) | instskip(SKIP_1) | instid1(VALU_DEP_3)
	v_dual_mul_f32 v115, 0xbeb58ec6, v52 :: v_dual_add_f32 v2, v102, v2
	v_mul_f32_e32 v65, 0xbf6f5d39, v65
	v_fmamk_f32 v126, v29, 0xbeb58ec6, v116
	s_delay_alu instid0(VALU_DEP_3) | instskip(SKIP_2) | instid1(VALU_DEP_3)
	v_dual_fmamk_f32 v113, v63, 0x3f6f5d39, v115 :: v_dual_add_f32 v2, v104, v2
	v_fmac_f32_e32 v115, 0xbf6f5d39, v63
	v_fmac_f32_e32 v125, 0xbf3f9e67, v10
	v_add_f32_e32 v3, v113, v3
	s_delay_alu instid0(VALU_DEP_4) | instskip(SKIP_4) | instid1(VALU_DEP_3)
	v_add_f32_e32 v105, v105, v2
	v_add_f32_e32 v117, v120, v117
	v_fmamk_f32 v120, v12, 0xbf3f9e67, v121
	v_fma_f32 v106, 0x3df6dbef, v6, -v106
	v_add_f32_e32 v2, v126, v108
	v_dual_mul_f32 v108, 0xbeb58ec6, v7 :: v_dual_add_f32 v117, v120, v117
	v_fmamk_f32 v120, v22, 0x3f116cb1, v123
	s_delay_alu instid0(VALU_DEP_4) | instskip(SKIP_4) | instid1(VALU_DEP_4)
	v_add_f32_e32 v102, v106, v103
	v_fma_f32 v103, 0x3f116cb1, v10, -v107
	v_mul_f32_e32 v127, 0x3f52af12, v57
	v_mul_f32_e32 v107, 0x3f7e222b, v60
	v_add_f32_e32 v113, v120, v117
	v_dual_mul_f32 v117, 0xbf6f5d39, v64 :: v_dual_add_f32 v102, v103, v102
	s_delay_alu instid0(VALU_DEP_4) | instskip(SKIP_2) | instid1(VALU_DEP_4)
	v_fma_f32 v120, 0x3f116cb1, v13, -v127
	v_fma_f32 v103, 0xbf788fa5, v13, -v110
	;; [unrolled: 1-line block ×3, first 2 shown]
	v_fmamk_f32 v128, v28, 0xbeb58ec6, v117
	v_fma_f32 v112, 0x3f62ad3f, v23, -v112
	v_add_f32_e32 v114, v120, v114
	v_fma_f32 v120, 0xbeb58ec6, v23, -v124
	s_delay_alu instid0(VALU_DEP_4) | instskip(SKIP_2) | instid1(VALU_DEP_4)
	v_dual_add_f32 v108, v93, v108 :: v_dual_add_f32 v113, v128, v113
	v_mul_f32_e32 v106, 0x3f7e222b, v63
	v_dual_add_f32 v40, v40, v39 :: v_dual_fmac_f32 v119, 0xbf788fa5, v4
	v_dual_add_f32 v114, v120, v114 :: v_dual_fmac_f32 v109, 0x3eedf032, v64
	s_delay_alu instid0(VALU_DEP_3) | instskip(SKIP_2) | instid1(VALU_DEP_4)
	v_fmamk_f32 v104, v52, 0x3df6dbef, v106
	v_add_f32_e32 v120, v103, v102
	v_add_f32_e32 v108, v1, v108
	;; [unrolled: 1-line block ×3, first 2 shown]
	v_fma_f32 v110, 0xbeb58ec6, v29, -v116
	v_add_f32_e32 v103, v104, v113
	v_dual_add_f32 v104, v109, v105 :: v_dual_add_f32 v105, v112, v120
	v_mul_f32_e32 v109, 0xbf3f9e67, v8
	v_mul_f32_e32 v112, 0xbeb58ec6, v4
	v_add_f32_e32 v38, v40, v38
	v_mul_f32_e32 v46, 0xbf52af12, v55
	v_mul_f32_e32 v64, 0xbf29c268, v64
	s_delay_alu instid0(VALU_DEP_4) | instskip(SKIP_2) | instid1(VALU_DEP_3)
	v_dual_add_f32 v94, v94, v109 :: v_dual_sub_f32 v109, v112, v92
	v_dual_add_f32 v93, v115, v104 :: v_dual_mul_f32 v104, 0xbf3f9e67, v6
	v_dual_add_f32 v92, v110, v105 :: v_dual_mul_f32 v105, 0x3f62ad3f, v12
	v_add_f32_e32 v94, v94, v108
	s_delay_alu instid0(VALU_DEP_3) | instskip(SKIP_1) | instid1(VALU_DEP_4)
	v_dual_mul_f32 v108, 0x3f62ad3f, v10 :: v_dual_sub_f32 v91, v104, v91
	v_add_f32_e32 v104, v0, v109
	v_add_f32_e32 v101, v101, v105
	s_delay_alu instid0(VALU_DEP_3) | instskip(SKIP_1) | instid1(VALU_DEP_4)
	v_dual_mul_f32 v109, 0xbeb58ec6, v12 :: v_dual_sub_f32 v90, v108, v90
	v_mul_f32_e32 v105, 0x3f116cb1, v4
	v_add_f32_e32 v91, v91, v104
	v_add_f32_e32 v37, v38, v37
	s_delay_alu instid0(VALU_DEP_4) | instskip(SKIP_1) | instid1(VALU_DEP_4)
	v_add_f32_e32 v87, v87, v109
	v_fma_f32 v44, 0x3f116cb1, v6, -v46
	v_dual_sub_f32 v73, v105, v73 :: v_dual_add_f32 v90, v90, v91
	v_mul_f32_e32 v91, 0xbf788fa5, v28
	v_dual_add_f32 v36, v37, v36 :: v_dual_mul_f32 v55, 0xbe750f2a, v63
	s_delay_alu instid0(VALU_DEP_3) | instskip(SKIP_1) | instid1(VALU_DEP_4)
	v_add_f32_e32 v73, v0, v73
	v_fma_f32 v37, 0xbf3f9e67, v12, -v121
	v_add_f32_e32 v91, v99, v91
	v_mul_f32_e32 v99, 0xbeb58ec6, v6
	v_dual_add_f32 v94, v101, v94 :: v_dual_mul_f32 v101, 0x3df6dbef, v13
	v_add_f32_e32 v35, v36, v35
	v_fma_f32 v36, 0x3f116cb1, v22, -v123
	v_add_f32_e32 v40, v41, v45
	v_mul_f32_e32 v50, 0xbf7e222b, v56
	v_dual_sub_f32 v98, v101, v98 :: v_dual_mul_f32 v101, 0x3df6dbef, v7
	v_fma_f32 v41, 0xbf788fa5, v7, -v111
	s_delay_alu instid0(VALU_DEP_4) | instskip(SKIP_1) | instid1(VALU_DEP_4)
	v_add_f32_e32 v15, v40, v15
	v_fma_f32 v40, 0x3f62ad3f, v8, -v118
	v_add_f32_e32 v90, v98, v90
	v_dual_mul_f32 v98, 0x3f116cb1, v52 :: v_dual_add_f32 v89, v89, v101
	v_dual_mul_f32 v101, 0xbf788fa5, v10 :: v_dual_add_f32 v38, v1, v41
	v_mul_f32_e32 v45, 0xbe750f2a, v60
	s_delay_alu instid0(VALU_DEP_3) | instskip(SKIP_4) | instid1(VALU_DEP_4)
	v_dual_add_f32 v97, v97, v98 :: v_dual_mul_f32 v98, 0x3f116cb1, v29
	v_mul_f32_e32 v104, 0x3df6dbef, v22
	v_add_f32_e32 v110, v1, v89
	v_fmac_f32_e32 v107, 0x3df6dbef, v29
	v_fmac_f32_e32 v127, 0x3f116cb1, v13
	v_dual_sub_f32 v95, v98, v95 :: v_dual_add_f32 v100, v100, v104
	s_delay_alu instid0(VALU_DEP_1) | instskip(SKIP_1) | instid1(VALU_DEP_1)
	v_add_f32_e32 v94, v100, v94
	v_mul_f32_e32 v100, 0xbf788fa5, v23
	v_sub_f32_e32 v96, v100, v96
	s_delay_alu instid0(VALU_DEP_1) | instskip(SKIP_1) | instid1(VALU_DEP_1)
	v_add_f32_e32 v90, v96, v90
	v_mul_f32_e32 v96, 0xbf788fa5, v8
	v_add_f32_e32 v96, v88, v96
	s_delay_alu instid0(VALU_DEP_3) | instskip(NEXT) | instid1(VALU_DEP_2)
	v_add_f32_e32 v88, v95, v90
	v_add_f32_e32 v95, v96, v110
	s_delay_alu instid0(VALU_DEP_1) | instskip(SKIP_4) | instid1(VALU_DEP_4)
	v_dual_mul_f32 v96, 0xbf3f9e67, v22 :: v_dual_add_f32 v87, v87, v95
	v_dual_mul_f32 v108, 0x3f116cb1, v7 :: v_dual_add_f32 v91, v91, v94
	v_mul_f32_e32 v104, 0x3df6dbef, v4
	v_mul_f32_e32 v94, 0xbf788fa5, v6
	;; [unrolled: 1-line block ×3, first 2 shown]
	v_add_f32_e32 v79, v79, v108
	v_add_f32_e32 v89, v97, v91
	v_mul_f32_e32 v97, 0x3f62ad3f, v22
	v_sub_f32_e32 v85, v104, v85
	v_mul_f32_e32 v91, 0xbf3f9e67, v13
	v_dual_add_f32 v79, v1, v79 :: v_dual_add_f32 v74, v74, v96
	s_delay_alu instid0(VALU_DEP_4) | instskip(NEXT) | instid1(VALU_DEP_4)
	v_dual_sub_f32 v67, v95, v67 :: v_dual_add_f32 v86, v86, v97
	v_add_f32_e32 v85, v0, v85
	v_dual_mul_f32 v97, 0x3f116cb1, v23 :: v_dual_sub_f32 v84, v94, v84
	v_dual_mul_f32 v94, 0x3df6dbef, v28 :: v_dual_sub_f32 v69, v91, v69
	s_delay_alu instid0(VALU_DEP_2) | instskip(NEXT) | instid1(VALU_DEP_3)
	v_sub_f32_e32 v77, v97, v77
	v_add_f32_e32 v84, v84, v85
	v_mul_f32_e32 v90, 0xbeb58ec6, v10
	v_mul_f32_e32 v100, 0xbeb58ec6, v8
	;; [unrolled: 1-line block ×3, first 2 shown]
	s_delay_alu instid0(VALU_DEP_3) | instskip(NEXT) | instid1(VALU_DEP_3)
	v_sub_f32_e32 v83, v90, v83
	v_add_f32_e32 v78, v78, v100
	s_delay_alu instid0(VALU_DEP_3) | instskip(NEXT) | instid1(VALU_DEP_2)
	v_sub_f32_e32 v66, v85, v66
	v_add_f32_e32 v78, v78, v79
	v_sub_f32_e32 v79, v99, v71
	v_dual_add_f32 v86, v86, v87 :: v_dual_mul_f32 v87, 0x3f116cb1, v28
	s_delay_alu instid0(VALU_DEP_2) | instskip(NEXT) | instid1(VALU_DEP_2)
	v_dual_mul_f32 v90, 0x3f62ad3f, v52 :: v_dual_add_f32 v73, v79, v73
	v_dual_add_f32 v82, v82, v87 :: v_dual_mul_f32 v87, 0xbf3f9e67, v52
	s_delay_alu instid0(VALU_DEP_1) | instskip(NEXT) | instid1(VALU_DEP_1)
	v_dual_mul_f32 v98, 0xbf788fa5, v12 :: v_dual_add_f32 v81, v81, v87
	v_dual_mul_f32 v104, 0x3f62ad3f, v13 :: v_dual_add_f32 v75, v75, v98
	s_delay_alu instid0(VALU_DEP_1) | instskip(NEXT) | instid1(VALU_DEP_1)
	v_dual_sub_f32 v80, v104, v80 :: v_dual_add_f32 v75, v75, v78
	v_dual_add_f32 v83, v83, v84 :: v_dual_add_f32 v74, v74, v75
	s_delay_alu instid0(VALU_DEP_1) | instskip(NEXT) | instid1(VALU_DEP_1)
	v_dual_add_f32 v80, v80, v83 :: v_dual_add_f32 v75, v70, v94
	v_dual_mul_f32 v108, 0xbf3f9e67, v29 :: v_dual_add_f32 v77, v77, v80
	s_delay_alu instid0(VALU_DEP_1) | instskip(NEXT) | instid1(VALU_DEP_1)
	v_sub_f32_e32 v76, v108, v76
	v_add_f32_e32 v70, v76, v77
	s_delay_alu instid0(VALU_DEP_4) | instskip(SKIP_3) | instid1(VALU_DEP_2)
	v_dual_mul_f32 v76, 0xbf52af12, v61 :: v_dual_add_f32 v61, v75, v74
	v_mul_f32_e32 v74, 0xbf7e222b, v62
	v_sub_f32_e32 v72, v101, v72
	v_add_f32_e32 v62, v68, v90
	v_dual_add_f32 v72, v72, v73 :: v_dual_fmamk_f32 v73, v7, 0x3f62ad3f, v59
	v_add_f32_e32 v82, v82, v86
	v_fma_f32 v7, 0x3f62ad3f, v7, -v59
	s_delay_alu instid0(VALU_DEP_3) | instskip(NEXT) | instid1(VALU_DEP_4)
	v_dual_add_f32 v62, v62, v61 :: v_dual_add_f32 v69, v69, v72
	v_dual_add_f32 v72, v1, v73 :: v_dual_fmamk_f32 v73, v8, 0x3f116cb1, v76
	s_delay_alu instid0(VALU_DEP_3) | instskip(NEXT) | instid1(VALU_DEP_3)
	v_dual_fmac_f32 v122, 0x3f62ad3f, v6 :: v_dual_add_f32 v1, v1, v7
	v_add_f32_e32 v67, v67, v69
	s_delay_alu instid0(VALU_DEP_3) | instskip(SKIP_1) | instid1(VALU_DEP_3)
	v_dual_fmamk_f32 v69, v12, 0x3df6dbef, v74 :: v_dual_add_f32 v68, v73, v72
	v_add_f32_e32 v14, v15, v14
	v_dual_fmamk_f32 v42, v52, 0xbf788fa5, v55 :: v_dual_add_f32 v61, v66, v67
	s_delay_alu instid0(VALU_DEP_3) | instskip(NEXT) | instid1(VALU_DEP_3)
	v_dual_fmamk_f32 v67, v22, 0xbeb58ec6, v65 :: v_dual_add_f32 v66, v69, v68
	v_add_f32_e32 v11, v14, v11
	v_add_f32_e32 v15, v40, v38
	;; [unrolled: 1-line block ×3, first 2 shown]
	s_delay_alu instid0(VALU_DEP_4) | instskip(SKIP_3) | instid1(VALU_DEP_4)
	v_dual_add_f32 v53, v67, v66 :: v_dual_fmamk_f32 v66, v28, 0xbf3f9e67, v64
	v_fma_f32 v67, 0x3f62ad3f, v4, -v54
	v_fma_f32 v7, 0x3f116cb1, v8, -v76
	v_dual_add_f32 v14, v37, v15 :: v_dual_add_f32 v9, v11, v9
	v_add_f32_e32 v51, v66, v53
	s_delay_alu instid0(VALU_DEP_4) | instskip(SKIP_2) | instid1(VALU_DEP_4)
	v_add_f32_e32 v53, v0, v67
	v_dual_add_f32 v37, v0, v119 :: v_dual_fmac_f32 v54, 0x3f62ad3f, v4
	v_add_f32_e32 v1, v7, v1
	v_add_f32_e32 v39, v42, v51
	s_delay_alu instid0(VALU_DEP_4)
	v_add_f32_e32 v43, v44, v53
	v_fma_f32 v44, 0x3df6dbef, v10, -v50
	v_mul_f32_e32 v42, 0xbf29c268, v58
	v_fma_f32 v7, 0x3df6dbef, v12, -v74
	v_add_f32_e32 v15, v35, v33
	v_add_f32_e32 v11, v36, v14
	;; [unrolled: 1-line block ×3, first 2 shown]
	v_fma_f32 v44, 0xbeb58ec6, v13, -v49
	v_fma_f32 v33, 0xbeb58ec6, v28, -v117
	v_dual_add_f32 v35, v122, v37 :: v_dual_add_f32 v0, v0, v54
	v_add_f32_e32 v1, v7, v1
	s_delay_alu instid0(VALU_DEP_4) | instskip(SKIP_4) | instid1(VALU_DEP_4)
	v_add_f32_e32 v43, v44, v43
	v_fma_f32 v44, 0xbf3f9e67, v23, -v42
	v_fma_f32 v7, 0xbeb58ec6, v22, -v65
	v_fmac_f32_e32 v46, 0x3f116cb1, v6
	v_lshrrev_b32_e32 v8, 1, v24
	v_dual_add_f32 v14, v9, v5 :: v_dual_add_f32 v41, v44, v43
	s_delay_alu instid0(VALU_DEP_4)
	v_add_f32_e32 v1, v7, v1
	v_fma_f32 v43, 0xbf788fa5, v29, -v45
	v_add_f32_e32 v5, v33, v11
	v_add_f32_e32 v4, v125, v35
	v_fma_f32 v6, 0x3df6dbef, v52, -v106
	v_add_f32_e32 v0, v46, v0
	v_add_f32_e32 v38, v43, v41
	v_fmac_f32_e32 v50, 0x3df6dbef, v10
	v_mul_u32_u24_e32 v7, 26, v8
	v_fma_f32 v8, 0xbf3f9e67, v28, -v64
	v_dual_add_f32 v4, v127, v4 :: v_dual_fmac_f32 v49, 0xbeb58ec6, v13
	v_fma_f32 v9, 0xbf788fa5, v52, -v55
	v_fmac_f32_e32 v42, 0xbf3f9e67, v23
	s_delay_alu instid0(VALU_DEP_4) | instskip(SKIP_2) | instid1(VALU_DEP_3)
	v_add_f32_e32 v8, v8, v1
	v_add_f32_e32 v1, v6, v5
	v_dual_add_f32 v0, v50, v0 :: v_dual_fmac_f32 v45, 0xbf788fa5, v29
	v_dual_fmac_f32 v124, 0xbeb58ec6, v23 :: v_dual_add_f32 v5, v9, v8
	v_or_b32_e32 v7, v7, v32
	s_delay_alu instid0(VALU_DEP_3) | instskip(NEXT) | instid1(VALU_DEP_3)
	v_add_f32_e32 v0, v49, v0
	v_add_f32_e32 v4, v124, v4
	s_delay_alu instid0(VALU_DEP_3) | instskip(NEXT) | instid1(VALU_DEP_3)
	v_lshl_add_u32 v7, v7, 3, 0
	v_add_f32_e32 v10, v42, v0
	s_delay_alu instid0(VALU_DEP_3) | instskip(NEXT) | instid1(VALU_DEP_2)
	v_add_f32_e32 v0, v107, v4
	v_add_f32_e32 v4, v45, v10
	ds_store_2addr_b64 v7, v[14:15], v[38:39] offset1:2
	ds_store_2addr_b64 v7, v[61:62], v[70:71] offset0:4 offset1:6
	ds_store_2addr_b64 v7, v[88:89], v[92:93] offset0:8 offset1:10
	;; [unrolled: 1-line block ×5, first 2 shown]
	ds_store_b64 v7, v[4:5] offset:192
.LBB0_21:
	s_wait_alu 0xfffe
	s_or_b32 exec_lo, exec_lo, s1
	v_add_nc_u32_e32 v0, 0x600, v34
	v_add_nc_u32_e32 v8, 0x1800, v34
	;; [unrolled: 1-line block ×3, first 2 shown]
	global_wb scope:SCOPE_SE
	s_wait_dscnt 0x0
	s_barrier_signal -1
	s_barrier_wait -1
	global_inv scope:SCOPE_SE
	ds_load_2addr_b64 v[4:7], v34 offset1:117
	ds_load_2addr_b64 v[0:3], v0 offset0:42 offset1:198
	ds_load_2addr_b64 v[12:15], v8 offset0:12 offset1:129
	;; [unrolled: 1-line block ×3, first 2 shown]
	ds_load_b64 v[22:23], v34 offset:8112
	v_cmp_gt_u32_e64 s0, 39, v24
	s_delay_alu instid0(VALU_DEP_1)
	s_and_saveexec_b32 s1, s0
	s_cbranch_execz .LBB0_23
; %bb.22:
	ds_load_b64 v[16:17], v34 offset:2808
	ds_load_b64 v[20:21], v34 offset:5928
	;; [unrolled: 1-line block ×3, first 2 shown]
.LBB0_23:
	s_wait_alu 0xfffe
	s_or_b32 exec_lo, exec_lo, s1
	v_and_b32_e32 v28, 0xff, v24
	v_and_b32_e32 v29, 0xff, v30
	;; [unrolled: 1-line block ×3, first 2 shown]
	s_delay_alu instid0(VALU_DEP_3) | instskip(NEXT) | instid1(VALU_DEP_3)
	v_mul_lo_u16 v28, 0x4f, v28
	v_mul_lo_u16 v29, 0x4f, v29
	s_delay_alu instid0(VALU_DEP_3) | instskip(NEXT) | instid1(VALU_DEP_3)
	v_mul_u32_u24_e32 v32, 0x4ec5, v32
	v_lshrrev_b16 v33, 11, v28
	s_delay_alu instid0(VALU_DEP_3) | instskip(NEXT) | instid1(VALU_DEP_3)
	v_lshrrev_b16 v51, 11, v29
	v_lshrrev_b32_e32 v32, 19, v32
	s_delay_alu instid0(VALU_DEP_3) | instskip(NEXT) | instid1(VALU_DEP_3)
	v_mul_lo_u16 v29, v33, 26
	v_mul_lo_u16 v35, v51, 26
	s_delay_alu instid0(VALU_DEP_3) | instskip(SKIP_1) | instid1(VALU_DEP_4)
	v_mul_lo_u16 v36, v32, 26
	v_mul_u32_u24_e32 v32, 0x270, v32
	v_sub_nc_u16 v29, v24, v29
	s_delay_alu instid0(VALU_DEP_4) | instskip(NEXT) | instid1(VALU_DEP_4)
	v_sub_nc_u16 v35, v30, v35
	v_sub_nc_u16 v36, v31, v36
	s_delay_alu instid0(VALU_DEP_3) | instskip(NEXT) | instid1(VALU_DEP_3)
	v_and_b32_e32 v52, 0xff, v29
	v_and_b32_e32 v53, 0xff, v35
	s_delay_alu instid0(VALU_DEP_3) | instskip(NEXT) | instid1(VALU_DEP_3)
	v_and_b32_e32 v54, 0xffff, v36
	v_lshlrev_b32_e32 v35, 4, v52
	s_delay_alu instid0(VALU_DEP_2)
	v_lshlrev_b32_e32 v43, 4, v54
	global_load_b128 v[35:38], v35, s[4:5] offset:192
	v_lshlrev_b32_e32 v39, 4, v53
	global_load_b128 v[39:42], v39, s[4:5] offset:192
	v_and_b32_e32 v28, 0xffff, v25
	s_wait_loadcnt_dscnt 0x102
	v_mul_f32_e32 v55, v38, v13
	v_mul_f32_e32 v38, v38, v12
	s_delay_alu instid0(VALU_DEP_2)
	v_fma_f32 v12, v37, v12, -v55
	s_wait_loadcnt 0x0
	v_mul_f32_e32 v57, v42, v15
	v_mul_u32_u24_e32 v28, 0x4ec5, v28
	s_wait_dscnt 0x1
	v_mul_f32_e32 v56, v40, v9
	v_mul_f32_e32 v40, v40, v8
	;; [unrolled: 1-line block ×3, first 2 shown]
	v_lshrrev_b32_e32 v28, 19, v28
	s_delay_alu instid0(VALU_DEP_4) | instskip(NEXT) | instid1(VALU_DEP_2)
	v_fma_f32 v8, v39, v8, -v56
	v_mul_lo_u16 v29, v28, 26
	s_delay_alu instid0(VALU_DEP_1) | instskip(NEXT) | instid1(VALU_DEP_1)
	v_sub_nc_u16 v29, v25, v29
	v_and_b32_e32 v29, 0xffff, v29
	s_delay_alu instid0(VALU_DEP_1)
	v_lshlrev_b32_e32 v47, 4, v29
	s_clause 0x1
	global_load_b128 v[43:46], v43, s[4:5] offset:192
	global_load_b128 v[47:50], v47, s[4:5] offset:192
	v_and_b32_e32 v33, 0xffff, v33
	v_and_b32_e32 v51, 0xffff, v51
	v_lshlrev_b32_e32 v53, 3, v53
	global_wb scope:SCOPE_SE
	s_wait_loadcnt_dscnt 0x0
	s_barrier_signal -1
	s_barrier_wait -1
	global_inv scope:SCOPE_SE
	v_mul_f32_e32 v58, v44, v11
	v_mul_f32_e32 v60, v21, v48
	v_dual_mul_f32 v44, v44, v10 :: v_dual_mul_f32 v59, v46, v23
	v_mul_f32_e32 v46, v46, v22
	v_mul_u32_u24_e32 v33, 0x270, v33
	v_mul_u32_u24_e32 v51, 0x270, v51
	s_delay_alu instid0(VALU_DEP_4) | instskip(NEXT) | instid1(VALU_DEP_4)
	v_fmac_f32_e32 v44, v43, v11
	v_fmac_f32_e32 v46, v45, v23
	v_fmac_f32_e32 v38, v37, v13
	v_fma_f32 v13, v41, v14, -v57
	v_fmac_f32_e32 v42, v41, v15
	v_add3_u32 v51, 0, v51, v53
	v_dual_sub_f32 v41, v44, v46 :: v_dual_lshlrev_b32 v52, 3, v52
	v_fmac_f32_e32 v40, v39, v9
	v_fma_f32 v9, v43, v10, -v58
	v_sub_f32_e32 v37, v8, v13
	v_fma_f32 v14, v45, v22, -v59
	v_add3_u32 v52, 0, v33, v52
	v_dual_mul_f32 v33, v20, v48 :: v_dual_mul_f32 v48, v19, v50
	v_add_f32_e32 v39, v0, v9
	v_sub_f32_e32 v23, v40, v42
	v_add_f32_e32 v43, v1, v44
	s_delay_alu instid0(VALU_DEP_4) | instskip(SKIP_2) | instid1(VALU_DEP_2)
	v_fmac_f32_e32 v33, v21, v47
	v_dual_add_f32 v21, v6, v8 :: v_dual_lshlrev_b32 v54, 3, v54
	v_sub_f32_e32 v45, v9, v14
	v_add3_u32 v53, 0, v32, v54
	v_mul_f32_e32 v54, v36, v3
	v_mul_f32_e32 v36, v36, v2
	;; [unrolled: 1-line block ×3, first 2 shown]
	s_delay_alu instid0(VALU_DEP_3) | instskip(NEXT) | instid1(VALU_DEP_3)
	v_fma_f32 v50, v35, v2, -v54
	v_fmac_f32_e32 v36, v35, v3
	v_fma_f32 v3, v20, v47, -v60
	v_fma_f32 v2, v18, v49, -v48
	v_add_f32_e32 v35, v7, v40
	s_delay_alu instid0(VALU_DEP_4) | instskip(SKIP_3) | instid1(VALU_DEP_4)
	v_dual_fmac_f32 v32, v19, v49 :: v_dual_add_f32 v19, v36, v38
	v_add_f32_e32 v11, v50, v12
	v_add_f32_e32 v18, v5, v36
	v_dual_sub_f32 v20, v50, v12 :: v_dual_add_f32 v47, v3, v2
	v_fma_f32 v5, -0.5, v19, v5
	v_add_f32_e32 v44, v44, v46
	v_dual_add_f32 v10, v4, v50 :: v_dual_add_f32 v49, v33, v32
	v_fma_f32 v4, -0.5, v11, v4
	v_dual_add_f32 v11, v35, v42 :: v_dual_add_f32 v22, v8, v13
	v_sub_f32_e32 v15, v36, v38
	v_dual_add_f32 v36, v40, v42 :: v_dual_fmac_f32 v1, -0.5, v44
	v_add_f32_e32 v40, v9, v14
	v_sub_f32_e32 v48, v33, v32
	v_sub_f32_e32 v50, v3, v2
	v_add_f32_e32 v9, v18, v38
	v_fma_f32 v6, -0.5, v22, v6
	v_fma_f32 v18, -0.5, v47, v16
	;; [unrolled: 1-line block ×3, first 2 shown]
	v_fmac_f32_e32 v7, -0.5, v36
	v_fma_f32 v0, -0.5, v40, v0
	v_add_f32_e32 v8, v10, v12
	v_add_f32_e32 v12, v39, v14
	v_fmamk_f32 v14, v15, 0x3f5db3d7, v4
	v_dual_fmac_f32 v4, 0xbf5db3d7, v15 :: v_dual_fmamk_f32 v15, v20, 0xbf5db3d7, v5
	v_dual_add_f32 v10, v21, v13 :: v_dual_fmamk_f32 v21, v50, 0xbf5db3d7, v19
	v_add_f32_e32 v13, v43, v46
	v_dual_fmac_f32 v5, 0x3f5db3d7, v20 :: v_dual_fmamk_f32 v22, v23, 0x3f5db3d7, v6
	v_dual_fmac_f32 v19, 0x3f5db3d7, v50 :: v_dual_fmamk_f32 v20, v48, 0x3f5db3d7, v18
	v_fmac_f32_e32 v18, 0xbf5db3d7, v48
	v_dual_fmac_f32 v6, 0xbf5db3d7, v23 :: v_dual_fmamk_f32 v23, v37, 0xbf5db3d7, v7
	v_fmac_f32_e32 v7, 0x3f5db3d7, v37
	v_fmamk_f32 v35, v41, 0x3f5db3d7, v0
	v_fmamk_f32 v36, v45, 0xbf5db3d7, v1
	v_fmac_f32_e32 v0, 0xbf5db3d7, v41
	v_fmac_f32_e32 v1, 0x3f5db3d7, v45
	ds_store_2addr_b64 v52, v[8:9], v[14:15] offset1:26
	ds_store_b64 v52, v[4:5] offset:416
	ds_store_2addr_b64 v51, v[10:11], v[22:23] offset1:26
	ds_store_b64 v51, v[6:7] offset:416
	ds_store_2addr_b64 v53, v[12:13], v[35:36] offset1:26
	ds_store_b64 v53, v[0:1] offset:416
	s_and_saveexec_b32 s1, s0
	s_cbranch_execz .LBB0_25
; %bb.24:
	v_mul_lo_u16 v0, 0x4e, v28
	v_dual_add_f32 v3, v16, v3 :: v_dual_lshlrev_b32 v4, 3, v29
	s_delay_alu instid0(VALU_DEP_2) | instskip(NEXT) | instid1(VALU_DEP_1)
	v_dual_add_f32 v1, v17, v33 :: v_dual_and_b32 v0, 0xffff, v0
	v_add_f32_e32 v1, v1, v32
	s_delay_alu instid0(VALU_DEP_2) | instskip(NEXT) | instid1(VALU_DEP_1)
	v_dual_add_f32 v0, v3, v2 :: v_dual_lshlrev_b32 v5, 3, v0
	v_add3_u32 v2, 0, v4, v5
	ds_store_2addr_b64 v2, v[0:1], v[20:21] offset1:26
	ds_store_b64 v2, v[18:19] offset:416
.LBB0_25:
	s_wait_alu 0xfffe
	s_or_b32 exec_lo, exec_lo, s1
	v_dual_mov_b32 v17, 0 :: v_dual_add_nc_u32 v0, 0xffffffb2, v24
	v_cmp_gt_u32_e64 s1, 0x4e, v24
	v_lshrrev_b16 v2, 1, v30
	global_wb scope:SCOPE_SE
	s_wait_dscnt 0x0
	s_barrier_signal -1
	s_barrier_wait -1
	s_wait_alu 0xf1ff
	v_cndmask_b32_e64 v22, v0, v24, s1
	v_and_b32_e32 v8, 0x7f, v2
	global_inv scope:SCOPE_SE
	v_add_nc_u32_e32 v29, 0x1400, v34
	v_lshlrev_b32_e32 v16, 2, v22
	v_mul_lo_u16 v8, 0xd3, v8
	s_delay_alu instid0(VALU_DEP_2) | instskip(NEXT) | instid1(VALU_DEP_2)
	v_lshlrev_b64_e32 v[0:1], 3, v[16:17]
	v_lshrrev_b16 v16, 13, v8
	s_delay_alu instid0(VALU_DEP_1) | instskip(NEXT) | instid1(VALU_DEP_3)
	v_mul_lo_u16 v8, 0x4e, v16
	v_add_co_u32 v4, s1, s4, v0
	s_wait_alu 0xf1ff
	s_delay_alu instid0(VALU_DEP_4)
	v_add_co_ci_u32_e64 v5, s1, s5, v1, s1
	s_clause 0x1
	global_load_b128 v[0:3], v[4:5], off offset:608
	global_load_b128 v[4:7], v[4:5], off offset:624
	v_sub_nc_u16 v8, v30, v8
	v_add_nc_u32_e32 v28, 0x400, v34
	v_add_nc_u32_e32 v35, 0xc00, v34
	v_cmp_lt_u32_e64 s1, 0x4d, v24
	s_delay_alu instid0(VALU_DEP_4) | instskip(NEXT) | instid1(VALU_DEP_1)
	v_and_b32_e32 v23, 0xff, v8
	v_lshlrev_b32_e32 v12, 5, v23
	s_clause 0x1
	global_load_b128 v[8:11], v12, s[4:5] offset:608
	global_load_b128 v[12:15], v12, s[4:5] offset:624
	ds_load_2addr_b64 v[38:41], v28 offset0:106 offset1:223
	ds_load_2addr_b64 v[42:45], v35 offset0:84 offset1:201
	;; [unrolled: 1-line block ×3, first 2 shown]
	v_add_nc_u32_e32 v28, 0x1c00, v34
	s_wait_alu 0xf1ff
	v_cndmask_b32_e64 v29, 0, 0xc30, s1
	v_and_b32_e32 v16, 0xffff, v16
	ds_load_2addr_b64 v[54:57], v34 offset1:117
	ds_load_2addr_b64 v[50:53], v28 offset0:40 offset1:157
	global_wb scope:SCOPE_SE
	s_wait_loadcnt_dscnt 0x0
	s_barrier_signal -1
	s_barrier_wait -1
	global_inv scope:SCOPE_SE
	v_mul_f32_e32 v33, v7, v50
	v_lshlrev_b32_e32 v22, 3, v22
	v_mul_f32_e32 v32, v7, v51
	s_delay_alu instid0(VALU_DEP_3) | instskip(NEXT) | instid1(VALU_DEP_3)
	v_fmac_f32_e32 v33, v6, v51
	v_add3_u32 v28, 0, v29, v22
	v_lshlrev_b32_e32 v22, 3, v23
	v_mul_f32_e32 v23, v3, v43
	v_mul_f32_e32 v3, v3, v42
	v_mul_u32_u24_e32 v16, 0xc30, v16
	v_mul_f32_e32 v29, v5, v47
	v_mul_f32_e32 v5, v5, v46
	s_delay_alu instid0(VALU_DEP_4) | instskip(NEXT) | instid1(VALU_DEP_4)
	v_dual_fmac_f32 v3, v2, v43 :: v_dual_add_nc_u32 v36, 0x600, v34
	v_add3_u32 v16, 0, v16, v22
	v_mul_f32_e32 v22, v1, v39
	s_delay_alu instid0(VALU_DEP_4)
	v_fmac_f32_e32 v5, v4, v47
	v_mul_f32_e32 v1, v1, v38
	v_mul_f32_e32 v62, v9, v41
	;; [unrolled: 1-line block ×3, first 2 shown]
	v_fma_f32 v7, v0, v38, -v22
	v_fma_f32 v22, v4, v46, -v29
	v_fmac_f32_e32 v1, v0, v39
	v_fma_f32 v0, v2, v42, -v23
	v_fma_f32 v23, v6, v50, -v32
	v_dual_add_f32 v2, v54, v7 :: v_dual_add_f32 v47, v3, v5
	s_delay_alu instid0(VALU_DEP_3) | instskip(NEXT) | instid1(VALU_DEP_3)
	v_dual_add_f32 v46, v55, v1 :: v_dual_sub_f32 v51, v0, v22
	v_dual_sub_f32 v6, v7, v0 :: v_dual_sub_f32 v43, v22, v23
	v_sub_f32_e32 v38, v23, v22
	v_dual_add_f32 v4, v0, v22 :: v_dual_sub_f32 v29, v1, v33
	v_dual_add_f32 v39, v7, v23 :: v_dual_sub_f32 v58, v33, v5
	v_sub_f32_e32 v42, v0, v7
	v_dual_sub_f32 v50, v7, v23 :: v_dual_add_f32 v59, v1, v33
	v_dual_sub_f32 v7, v1, v3 :: v_dual_sub_f32 v60, v3, v1
	v_dual_sub_f32 v61, v5, v33 :: v_dual_add_f32 v38, v6, v38
	v_mul_f32_e32 v63, v45, v11
	v_dual_mul_f32 v11, v44, v11 :: v_dual_mul_f32 v64, v49, v13
	v_dual_mul_f32 v13, v48, v13 :: v_dual_add_f32 v66, v2, v0
	v_mul_f32_e32 v65, v53, v15
	v_dual_sub_f32 v32, v3, v5 :: v_dual_add_nc_u32 v37, 0x1800, v34
	v_mul_f32_e32 v15, v52, v15
	v_fma_f32 v0, -0.5, v4, v54
	v_fma_f32 v2, -0.5, v39, v54
	v_add_f32_e32 v39, v42, v43
	v_add_f32_e32 v42, v46, v3
	v_fma_f32 v1, -0.5, v47, v55
	v_fmamk_f32 v4, v29, 0x3f737871, v0
	v_fma_f32 v3, -0.5, v59, v55
	v_add_f32_e32 v46, v60, v61
	v_fma_f32 v40, v8, v40, -v62
	v_fmac_f32_e32 v9, v8, v41
	v_fma_f32 v41, v44, v10, -v63
	v_dual_fmac_f32 v11, v45, v10 :: v_dual_fmamk_f32 v6, v32, 0xbf737871, v2
	v_fma_f32 v10, v48, v12, -v64
	v_dual_fmac_f32 v13, v49, v12 :: v_dual_add_f32 v12, v42, v5
	v_add_f32_e32 v8, v66, v22
	v_fma_f32 v44, v52, v14, -v65
	v_dual_add_f32 v43, v7, v58 :: v_dual_fmac_f32 v0, 0xbf737871, v29
	v_dual_fmac_f32 v15, v53, v14 :: v_dual_add_f32 v14, v56, v40
	v_fmac_f32_e32 v2, 0x3f737871, v32
	v_dual_fmamk_f32 v5, v50, 0xbf737871, v1 :: v_dual_add_f32 v22, v41, v10
	v_dual_fmamk_f32 v7, v51, 0x3f737871, v3 :: v_dual_sub_f32 v48, v44, v10
	v_dual_add_f32 v49, v40, v44 :: v_dual_add_f32 v54, v57, v9
	v_dual_add_f32 v55, v11, v13 :: v_dual_add_f32 v8, v8, v23
	v_dual_fmac_f32 v1, 0x3f737871, v50 :: v_dual_sub_f32 v42, v9, v15
	v_dual_fmac_f32 v3, 0xbf737871, v51 :: v_dual_sub_f32 v52, v41, v40
	v_sub_f32_e32 v45, v11, v13
	v_dual_sub_f32 v47, v40, v41 :: v_dual_sub_f32 v58, v41, v10
	v_dual_sub_f32 v53, v10, v44 :: v_dual_sub_f32 v60, v15, v13
	;; [unrolled: 1-line block ×3, first 2 shown]
	v_dual_sub_f32 v62, v11, v9 :: v_dual_add_f32 v61, v9, v15
	v_dual_fmac_f32 v4, 0x3f167918, v32 :: v_dual_sub_f32 v63, v13, v15
	v_fmac_f32_e32 v0, 0xbf167918, v32
	v_dual_fmac_f32 v6, 0x3f167918, v29 :: v_dual_fmac_f32 v1, 0x3f167918, v51
	v_dual_fmac_f32 v2, 0xbf167918, v29 :: v_dual_fmac_f32 v5, 0xbf167918, v51
	v_add_f32_e32 v9, v12, v33
	v_dual_fmac_f32 v7, 0xbf167918, v50 :: v_dual_add_f32 v12, v14, v41
	v_fma_f32 v22, -0.5, v22, v56
	v_fma_f32 v56, -0.5, v49, v56
	v_dual_add_f32 v11, v54, v11 :: v_dual_fmac_f32 v0, 0x3e9e377a, v38
	v_fma_f32 v23, -0.5, v55, v57
	v_dual_add_f32 v29, v52, v53 :: v_dual_fmac_f32 v4, 0x3e9e377a, v38
	v_dual_fmac_f32 v57, -0.5, v61 :: v_dual_fmac_f32 v6, 0x3e9e377a, v39
	v_dual_add_f32 v33, v62, v63 :: v_dual_add_f32 v38, v12, v10
	v_dual_fmac_f32 v2, 0x3e9e377a, v39 :: v_dual_fmac_f32 v7, 0x3e9e377a, v46
	v_dual_fmamk_f32 v10, v42, 0x3f737871, v22 :: v_dual_add_f32 v39, v11, v13
	v_dual_fmac_f32 v22, 0xbf737871, v42 :: v_dual_fmamk_f32 v11, v40, 0xbf737871, v23
	v_fmamk_f32 v12, v45, 0xbf737871, v56
	v_dual_fmac_f32 v56, 0x3f737871, v45 :: v_dual_fmac_f32 v23, 0x3f737871, v40
	v_dual_fmac_f32 v3, 0x3f167918, v50 :: v_dual_add_f32 v32, v59, v60
	v_dual_add_f32 v14, v47, v48 :: v_dual_fmamk_f32 v13, v58, 0x3f737871, v57
	v_fmac_f32_e32 v57, 0xbf737871, v58
	v_dual_fmac_f32 v22, 0xbf167918, v45 :: v_dual_fmac_f32 v11, 0xbf167918, v58
	v_fmac_f32_e32 v23, 0x3f167918, v58
	v_fmac_f32_e32 v5, 0x3e9e377a, v43
	v_fmac_f32_e32 v10, 0x3f167918, v45
	v_dual_fmac_f32 v12, 0x3f167918, v42 :: v_dual_fmac_f32 v57, 0x3f167918, v40
	v_dual_fmac_f32 v22, 0x3e9e377a, v14 :: v_dual_fmac_f32 v11, 0x3e9e377a, v32
	v_dual_fmac_f32 v23, 0x3e9e377a, v32 :: v_dual_lshlrev_b32 v32, 1, v30
	v_dual_fmac_f32 v56, 0xbf167918, v42 :: v_dual_fmac_f32 v13, 0xbf167918, v40
	s_delay_alu instid0(VALU_DEP_4)
	v_dual_fmac_f32 v3, 0x3e9e377a, v46 :: v_dual_fmac_f32 v12, 0x3e9e377a, v29
	ds_store_2addr_b64 v28, v[8:9], v[4:5] offset1:78
	v_add_f32_e32 v5, v39, v15
	v_dual_fmac_f32 v1, 0x3e9e377a, v43 :: v_dual_fmac_f32 v10, 0x3e9e377a, v14
	v_add_f32_e32 v4, v38, v44
	v_fmac_f32_e32 v56, 0x3e9e377a, v29
	v_fmac_f32_e32 v13, 0x3e9e377a, v33
	;; [unrolled: 1-line block ×3, first 2 shown]
	ds_store_2addr_b64 v28, v[6:7], v[2:3] offset0:156 offset1:234
	ds_store_b64 v28, v[0:1] offset:2496
	ds_store_2addr_b64 v16, v[4:5], v[10:11] offset1:78
	ds_store_2addr_b64 v16, v[12:13], v[56:57] offset0:156 offset1:234
	ds_store_b64 v16, v[22:23] offset:2496
	global_wb scope:SCOPE_SE
	s_wait_dscnt 0x0
	s_barrier_signal -1
	s_barrier_wait -1
	global_inv scope:SCOPE_SE
	ds_load_2addr_b64 v[4:7], v34 offset1:117
	ds_load_2addr_b64 v[0:3], v36 offset0:42 offset1:198
	ds_load_2addr_b64 v[8:11], v37 offset0:12 offset1:129
	;; [unrolled: 1-line block ×3, first 2 shown]
	ds_load_b64 v[28:29], v34 offset:8112
	v_lshlrev_b32_e32 v30, 1, v31
	s_and_saveexec_b32 s1, s0
	s_cbranch_execz .LBB0_27
; %bb.26:
	ds_load_b64 v[22:23], v34 offset:2808
	ds_load_b64 v[20:21], v34 offset:5928
	;; [unrolled: 1-line block ×3, first 2 shown]
.LBB0_27:
	s_wait_alu 0xfffe
	s_or_b32 exec_lo, exec_lo, s1
	v_dual_mov_b32 v33, v17 :: v_dual_lshlrev_b32 v16, 1, v24
	v_mov_b32_e32 v31, v17
	s_delay_alu instid0(VALU_DEP_2) | instskip(NEXT) | instid1(VALU_DEP_3)
	v_lshlrev_b64_e32 v[16:17], 3, v[16:17]
	v_lshlrev_b64_e32 v[32:33], 3, v[32:33]
	s_delay_alu instid0(VALU_DEP_3) | instskip(NEXT) | instid1(VALU_DEP_3)
	v_lshlrev_b64_e32 v[38:39], 3, v[30:31]
	v_add_co_u32 v16, s1, s4, v16
	s_wait_alu 0xf1ff
	s_delay_alu instid0(VALU_DEP_4) | instskip(NEXT) | instid1(VALU_DEP_4)
	v_add_co_ci_u32_e64 v17, s1, s5, v17, s1
	v_add_co_u32 v40, s1, s4, v32
	s_wait_alu 0xf1ff
	v_add_co_ci_u32_e64 v41, s1, s5, v33, s1
	global_load_b128 v[30:33], v[16:17], off offset:3104
	v_add_co_u32 v16, s1, s4, v38
	s_wait_alu 0xf1ff
	v_add_co_ci_u32_e64 v17, s1, s5, v39, s1
	s_clause 0x1
	global_load_b128 v[38:41], v[40:41], off offset:3104
	global_load_b128 v[42:45], v[16:17], off offset:3104
	global_wb scope:SCOPE_SE
	s_wait_loadcnt_dscnt 0x0
	s_barrier_signal -1
	s_barrier_wait -1
	global_inv scope:SCOPE_SE
	v_mul_f32_e32 v16, v31, v3
	v_mul_f32_e32 v17, v31, v2
	;; [unrolled: 1-line block ×4, first 2 shown]
	s_delay_alu instid0(VALU_DEP_4)
	v_fma_f32 v2, v30, v2, -v16
	v_mul_f32_e32 v46, v39, v13
	v_mul_f32_e32 v48, v43, v15
	;; [unrolled: 1-line block ×3, first 2 shown]
	v_fmac_f32_e32 v17, v30, v3
	v_fma_f32 v3, v32, v8, -v31
	v_fma_f32 v8, v38, v12, -v46
	s_delay_alu instid0(VALU_DEP_4) | instskip(SKIP_4) | instid1(VALU_DEP_3)
	v_dual_add_f32 v12, v4, v2 :: v_dual_fmac_f32 v39, v38, v13
	v_mul_f32_e32 v47, v41, v11
	v_mul_f32_e32 v41, v41, v10
	v_fmac_f32_e32 v33, v32, v9
	v_mul_f32_e32 v43, v43, v14
	v_fmac_f32_e32 v41, v40, v11
	s_delay_alu instid0(VALU_DEP_1)
	v_sub_f32_e32 v30, v39, v41
	v_fma_f32 v9, v40, v10, -v47
	v_fma_f32 v10, v42, v14, -v48
	v_mul_f32_e32 v49, v45, v29
	v_dual_mul_f32 v45, v45, v28 :: v_dual_add_f32 v32, v39, v41
	v_dual_sub_f32 v14, v17, v33 :: v_dual_add_f32 v13, v2, v3
	s_delay_alu instid0(VALU_DEP_3) | instskip(NEXT) | instid1(VALU_DEP_3)
	v_fma_f32 v11, v44, v28, -v49
	v_dual_fmac_f32 v45, v44, v29 :: v_dual_add_f32 v28, v6, v8
	v_fmac_f32_e32 v43, v42, v15
	s_delay_alu instid0(VALU_DEP_4) | instskip(NEXT) | instid1(VALU_DEP_4)
	v_fma_f32 v4, -0.5, v13, v4
	v_dual_add_f32 v29, v8, v9 :: v_dual_add_f32 v40, v10, v11
	v_sub_f32_e32 v38, v8, v9
	v_sub_f32_e32 v46, v10, v11
	v_add_f32_e32 v8, v28, v9
	v_sub_f32_e32 v42, v43, v45
	v_add_f32_e32 v44, v1, v43
	v_add_f32_e32 v16, v17, v33
	;; [unrolled: 1-line block ×3, first 2 shown]
	v_fma_f32 v6, -0.5, v29, v6
	v_sub_f32_e32 v17, v2, v3
	v_add_f32_e32 v2, v12, v3
	v_add_f32_e32 v31, v7, v39
	;; [unrolled: 1-line block ×3, first 2 shown]
	v_fma_f32 v0, -0.5, v40, v0
	v_add_f32_e32 v43, v43, v45
	v_fma_f32 v5, -0.5, v16, v5
	v_dual_fmac_f32 v7, -0.5, v32 :: v_dual_fmamk_f32 v12, v14, 0x3f5db3d7, v4
	s_delay_alu instid0(VALU_DEP_4) | instskip(NEXT) | instid1(VALU_DEP_4)
	v_fmamk_f32 v16, v42, 0x3f5db3d7, v0
	v_dual_fmac_f32 v0, 0xbf5db3d7, v42 :: v_dual_fmac_f32 v1, -0.5, v43
	v_add_f32_e32 v10, v39, v11
	v_dual_add_f32 v3, v15, v33 :: v_dual_fmac_f32 v4, 0xbf5db3d7, v14
	v_dual_fmamk_f32 v14, v30, 0x3f5db3d7, v6 :: v_dual_add_f32 v9, v31, v41
	v_dual_fmac_f32 v6, 0xbf5db3d7, v30 :: v_dual_fmamk_f32 v13, v17, 0xbf5db3d7, v5
	v_fmac_f32_e32 v5, 0x3f5db3d7, v17
	v_fmamk_f32 v15, v38, 0xbf5db3d7, v7
	v_fmac_f32_e32 v7, 0x3f5db3d7, v38
	v_add_f32_e32 v11, v44, v45
	v_fmamk_f32 v17, v46, 0xbf5db3d7, v1
	v_fmac_f32_e32 v1, 0x3f5db3d7, v46
	ds_store_2addr_b64 v34, v[2:3], v[8:9] offset1:117
	ds_store_2addr_b64 v37, v[4:5], v[6:7] offset0:12 offset1:129
	ds_store_2addr_b64 v36, v[10:11], v[12:13] offset0:42 offset1:198
	;; [unrolled: 1-line block ×3, first 2 shown]
	ds_store_b64 v34, v[0:1] offset:8112
	s_and_saveexec_b32 s1, s0
	s_cbranch_execz .LBB0_29
; %bb.28:
	v_subrev_nc_u32_e32 v0, 39, v24
	s_delay_alu instid0(VALU_DEP_1) | instskip(NEXT) | instid1(VALU_DEP_1)
	v_cndmask_b32_e64 v0, v0, v25, s0
	v_dual_mov_b32 v1, 0 :: v_dual_lshlrev_b32 v0, 1, v0
	s_delay_alu instid0(VALU_DEP_1) | instskip(NEXT) | instid1(VALU_DEP_1)
	v_lshlrev_b64_e32 v[0:1], 3, v[0:1]
	v_add_co_u32 v0, s0, s4, v0
	s_wait_alu 0xf1ff
	s_delay_alu instid0(VALU_DEP_2) | instskip(SKIP_4) | instid1(VALU_DEP_2)
	v_add_co_ci_u32_e64 v1, s0, s5, v1, s0
	global_load_b128 v[0:3], v[0:1], off offset:3104
	s_wait_loadcnt 0x0
	v_dual_mul_f32 v5, v20, v1 :: v_dual_mul_f32 v6, v18, v3
	v_dual_mul_f32 v4, v21, v1 :: v_dual_mul_f32 v1, v19, v3
	v_dual_fmac_f32 v5, v21, v0 :: v_dual_fmac_f32 v6, v19, v2
	s_delay_alu instid0(VALU_DEP_2) | instskip(NEXT) | instid1(VALU_DEP_3)
	v_fma_f32 v3, v20, v0, -v4
	v_fma_f32 v2, v18, v2, -v1
	s_delay_alu instid0(VALU_DEP_2) | instskip(NEXT) | instid1(VALU_DEP_2)
	v_dual_add_f32 v0, v5, v6 :: v_dual_add_f32 v9, v22, v3
	v_sub_f32_e32 v4, v3, v2
	s_delay_alu instid0(VALU_DEP_2) | instskip(SKIP_1) | instid1(VALU_DEP_2)
	v_fma_f32 v1, -0.5, v0, v23
	v_add_f32_e32 v8, v23, v5
	v_dual_sub_f32 v10, v5, v6 :: v_dual_fmamk_f32 v5, v4, 0x3f5db3d7, v1
	v_fmac_f32_e32 v1, 0xbf5db3d7, v4
	v_add_f32_e32 v7, v3, v2
	s_delay_alu instid0(VALU_DEP_4) | instskip(SKIP_1) | instid1(VALU_DEP_3)
	v_add_f32_e32 v3, v8, v6
	v_add_f32_e32 v2, v9, v2
	v_fma_f32 v0, -0.5, v7, v22
	s_delay_alu instid0(VALU_DEP_1)
	v_fmamk_f32 v4, v10, 0xbf5db3d7, v0
	v_fmac_f32_e32 v0, 0x3f5db3d7, v10
	ds_store_b64 v34, v[2:3] offset:2808
	ds_store_b64 v34, v[0:1] offset:5928
	;; [unrolled: 1-line block ×3, first 2 shown]
.LBB0_29:
	s_wait_alu 0xfffe
	s_or_b32 exec_lo, exec_lo, s1
	global_wb scope:SCOPE_SE
	s_wait_dscnt 0x0
	s_barrier_signal -1
	s_barrier_wait -1
	global_inv scope:SCOPE_SE
	s_and_saveexec_b32 s0, vcc_lo
	s_cbranch_execz .LBB0_31
; %bb.30:
	v_dual_mov_b32 v25, 0 :: v_dual_add_nc_u32 v6, 0x75, v24
	v_lshl_add_u32 v20, v24, 3, 0
	v_add_co_u32 v26, vcc_lo, s8, v26
	s_delay_alu instid0(VALU_DEP_3)
	v_lshlrev_b64_e32 v[4:5], 3, v[24:25]
	s_wait_alu 0xfffd
	v_add_co_ci_u32_e32 v27, vcc_lo, s9, v27, vcc_lo
	v_dual_mov_b32 v7, v25 :: v_dual_add_nc_u32 v8, 0xea, v24
	v_dual_mov_b32 v9, v25 :: v_dual_add_nc_u32 v14, 0x400, v20
	ds_load_2addr_b64 v[0:3], v20 offset1:117
	v_add_co_u32 v10, vcc_lo, v26, v4
	s_wait_alu 0xfffd
	v_add_co_ci_u32_e32 v11, vcc_lo, v27, v5, vcc_lo
	v_lshlrev_b64_e32 v[12:13], 3, v[6:7]
	ds_load_2addr_b64 v[4:7], v14 offset0:106 offset1:223
	v_dual_mov_b32 v15, v25 :: v_dual_add_nc_u32 v14, 0x15f, v24
	v_lshlrev_b64_e32 v[8:9], 3, v[8:9]
	v_dual_mov_b32 v17, v25 :: v_dual_add_nc_u32 v16, 0x1d4, v24
	v_add_co_u32 v12, vcc_lo, v26, v12
	s_delay_alu instid0(VALU_DEP_4)
	v_lshlrev_b64_e32 v[14:15], 3, v[14:15]
	s_wait_alu 0xfffd
	v_add_co_ci_u32_e32 v13, vcc_lo, v27, v13, vcc_lo
	v_add_co_u32 v8, vcc_lo, v26, v8
	s_wait_alu 0xfffd
	v_add_co_ci_u32_e32 v9, vcc_lo, v27, v9, vcc_lo
	v_add_co_u32 v14, vcc_lo, v26, v14
	s_wait_alu 0xfffd
	v_add_co_ci_u32_e32 v15, vcc_lo, v27, v15, vcc_lo
	v_add_nc_u32_e32 v18, 0xc00, v20
	s_wait_dscnt 0x1
	s_clause 0x1
	global_store_b64 v[10:11], v[0:1], off
	global_store_b64 v[12:13], v[2:3], off
	s_wait_dscnt 0x0
	s_clause 0x1
	global_store_b64 v[8:9], v[4:5], off
	global_store_b64 v[14:15], v[6:7], off
	v_dual_mov_b32 v5, v25 :: v_dual_add_nc_u32 v4, 0x249, v24
	v_mov_b32_e32 v9, v25
	v_lshlrev_b64_e32 v[16:17], 3, v[16:17]
	v_dual_mov_b32 v11, v25 :: v_dual_add_nc_u32 v8, 0x2be, v24
	s_delay_alu instid0(VALU_DEP_4)
	v_lshlrev_b64_e32 v[4:5], 3, v[4:5]
	v_add_nc_u32_e32 v10, 0x333, v24
	v_dual_mov_b32 v19, v25 :: v_dual_add_nc_u32 v6, 0x1400, v20
	v_add_co_u32 v12, vcc_lo, v26, v16
	v_lshlrev_b64_e32 v[8:9], 3, v[8:9]
	s_wait_alu 0xfffd
	v_add_co_ci_u32_e32 v13, vcc_lo, v27, v17, vcc_lo
	v_add_co_u32 v14, vcc_lo, v26, v4
	v_lshlrev_b64_e32 v[16:17], 3, v[10:11]
	v_add_nc_u32_e32 v10, 0x1c00, v20
	ds_load_2addr_b64 v[0:3], v18 offset0:84 offset1:201
	s_wait_alu 0xfffd
	v_add_co_ci_u32_e32 v15, vcc_lo, v27, v5, vcc_lo
	ds_load_2addr_b64 v[4:7], v6 offset0:62 offset1:179
	v_add_co_u32 v20, vcc_lo, v26, v8
	v_add_nc_u32_e32 v18, 0x3a8, v24
	s_wait_alu 0xfffd
	v_add_co_ci_u32_e32 v21, vcc_lo, v27, v9, vcc_lo
	ds_load_2addr_b64 v[8:11], v10 offset0:40 offset1:157
	v_add_nc_u32_e32 v24, 0x41d, v24
	v_lshlrev_b64_e32 v[18:19], 3, v[18:19]
	v_add_co_u32 v16, vcc_lo, v26, v16
	s_wait_alu 0xfffd
	v_add_co_ci_u32_e32 v17, vcc_lo, v27, v17, vcc_lo
	v_lshlrev_b64_e32 v[22:23], 3, v[24:25]
	s_delay_alu instid0(VALU_DEP_4) | instskip(SKIP_2) | instid1(VALU_DEP_3)
	v_add_co_u32 v18, vcc_lo, v26, v18
	s_wait_alu 0xfffd
	v_add_co_ci_u32_e32 v19, vcc_lo, v27, v19, vcc_lo
	v_add_co_u32 v22, vcc_lo, v26, v22
	s_wait_alu 0xfffd
	v_add_co_ci_u32_e32 v23, vcc_lo, v27, v23, vcc_lo
	s_wait_dscnt 0x2
	s_clause 0x1
	global_store_b64 v[12:13], v[0:1], off
	global_store_b64 v[14:15], v[2:3], off
	s_wait_dscnt 0x1
	s_clause 0x1
	global_store_b64 v[20:21], v[4:5], off
	global_store_b64 v[16:17], v[6:7], off
	;; [unrolled: 4-line block ×3, first 2 shown]
.LBB0_31:
	s_nop 0
	s_sendmsg sendmsg(MSG_DEALLOC_VGPRS)
	s_endpgm
	.section	.rodata,"a",@progbits
	.p2align	6, 0x0
	.amdhsa_kernel fft_rtc_fwd_len1170_factors_2_13_3_5_3_wgs_117_tpt_117_sp_ip_CI_unitstride_sbrr_C2R_dirReg
		.amdhsa_group_segment_fixed_size 0
		.amdhsa_private_segment_fixed_size 0
		.amdhsa_kernarg_size 88
		.amdhsa_user_sgpr_count 2
		.amdhsa_user_sgpr_dispatch_ptr 0
		.amdhsa_user_sgpr_queue_ptr 0
		.amdhsa_user_sgpr_kernarg_segment_ptr 1
		.amdhsa_user_sgpr_dispatch_id 0
		.amdhsa_user_sgpr_private_segment_size 0
		.amdhsa_wavefront_size32 1
		.amdhsa_uses_dynamic_stack 0
		.amdhsa_enable_private_segment 0
		.amdhsa_system_sgpr_workgroup_id_x 1
		.amdhsa_system_sgpr_workgroup_id_y 0
		.amdhsa_system_sgpr_workgroup_id_z 0
		.amdhsa_system_sgpr_workgroup_info 0
		.amdhsa_system_vgpr_workitem_id 0
		.amdhsa_next_free_vgpr 130
		.amdhsa_next_free_sgpr 32
		.amdhsa_reserve_vcc 1
		.amdhsa_float_round_mode_32 0
		.amdhsa_float_round_mode_16_64 0
		.amdhsa_float_denorm_mode_32 3
		.amdhsa_float_denorm_mode_16_64 3
		.amdhsa_fp16_overflow 0
		.amdhsa_workgroup_processor_mode 1
		.amdhsa_memory_ordered 1
		.amdhsa_forward_progress 0
		.amdhsa_round_robin_scheduling 0
		.amdhsa_exception_fp_ieee_invalid_op 0
		.amdhsa_exception_fp_denorm_src 0
		.amdhsa_exception_fp_ieee_div_zero 0
		.amdhsa_exception_fp_ieee_overflow 0
		.amdhsa_exception_fp_ieee_underflow 0
		.amdhsa_exception_fp_ieee_inexact 0
		.amdhsa_exception_int_div_zero 0
	.end_amdhsa_kernel
	.text
.Lfunc_end0:
	.size	fft_rtc_fwd_len1170_factors_2_13_3_5_3_wgs_117_tpt_117_sp_ip_CI_unitstride_sbrr_C2R_dirReg, .Lfunc_end0-fft_rtc_fwd_len1170_factors_2_13_3_5_3_wgs_117_tpt_117_sp_ip_CI_unitstride_sbrr_C2R_dirReg
                                        ; -- End function
	.section	.AMDGPU.csdata,"",@progbits
; Kernel info:
; codeLenInByte = 10664
; NumSgprs: 34
; NumVgprs: 130
; ScratchSize: 0
; MemoryBound: 0
; FloatMode: 240
; IeeeMode: 1
; LDSByteSize: 0 bytes/workgroup (compile time only)
; SGPRBlocks: 4
; VGPRBlocks: 16
; NumSGPRsForWavesPerEU: 34
; NumVGPRsForWavesPerEU: 130
; Occupancy: 10
; WaveLimiterHint : 1
; COMPUTE_PGM_RSRC2:SCRATCH_EN: 0
; COMPUTE_PGM_RSRC2:USER_SGPR: 2
; COMPUTE_PGM_RSRC2:TRAP_HANDLER: 0
; COMPUTE_PGM_RSRC2:TGID_X_EN: 1
; COMPUTE_PGM_RSRC2:TGID_Y_EN: 0
; COMPUTE_PGM_RSRC2:TGID_Z_EN: 0
; COMPUTE_PGM_RSRC2:TIDIG_COMP_CNT: 0
	.text
	.p2alignl 7, 3214868480
	.fill 96, 4, 3214868480
	.type	__hip_cuid_5a781858ea48223f,@object ; @__hip_cuid_5a781858ea48223f
	.section	.bss,"aw",@nobits
	.globl	__hip_cuid_5a781858ea48223f
__hip_cuid_5a781858ea48223f:
	.byte	0                               ; 0x0
	.size	__hip_cuid_5a781858ea48223f, 1

	.ident	"AMD clang version 19.0.0git (https://github.com/RadeonOpenCompute/llvm-project roc-6.4.0 25133 c7fe45cf4b819c5991fe208aaa96edf142730f1d)"
	.section	".note.GNU-stack","",@progbits
	.addrsig
	.addrsig_sym __hip_cuid_5a781858ea48223f
	.amdgpu_metadata
---
amdhsa.kernels:
  - .args:
      - .actual_access:  read_only
        .address_space:  global
        .offset:         0
        .size:           8
        .value_kind:     global_buffer
      - .offset:         8
        .size:           8
        .value_kind:     by_value
      - .actual_access:  read_only
        .address_space:  global
        .offset:         16
        .size:           8
        .value_kind:     global_buffer
      - .actual_access:  read_only
        .address_space:  global
        .offset:         24
        .size:           8
        .value_kind:     global_buffer
      - .offset:         32
        .size:           8
        .value_kind:     by_value
      - .actual_access:  read_only
        .address_space:  global
        .offset:         40
        .size:           8
        .value_kind:     global_buffer
      - .actual_access:  read_only
        .address_space:  global
        .offset:         48
        .size:           8
        .value_kind:     global_buffer
      - .offset:         56
        .size:           4
        .value_kind:     by_value
      - .actual_access:  read_only
        .address_space:  global
        .offset:         64
        .size:           8
        .value_kind:     global_buffer
      - .actual_access:  read_only
        .address_space:  global
        .offset:         72
        .size:           8
        .value_kind:     global_buffer
      - .address_space:  global
        .offset:         80
        .size:           8
        .value_kind:     global_buffer
    .group_segment_fixed_size: 0
    .kernarg_segment_align: 8
    .kernarg_segment_size: 88
    .language:       OpenCL C
    .language_version:
      - 2
      - 0
    .max_flat_workgroup_size: 117
    .name:           fft_rtc_fwd_len1170_factors_2_13_3_5_3_wgs_117_tpt_117_sp_ip_CI_unitstride_sbrr_C2R_dirReg
    .private_segment_fixed_size: 0
    .sgpr_count:     34
    .sgpr_spill_count: 0
    .symbol:         fft_rtc_fwd_len1170_factors_2_13_3_5_3_wgs_117_tpt_117_sp_ip_CI_unitstride_sbrr_C2R_dirReg.kd
    .uniform_work_group_size: 1
    .uses_dynamic_stack: false
    .vgpr_count:     130
    .vgpr_spill_count: 0
    .wavefront_size: 32
    .workgroup_processor_mode: 1
amdhsa.target:   amdgcn-amd-amdhsa--gfx1201
amdhsa.version:
  - 1
  - 2
...

	.end_amdgpu_metadata
